;; amdgpu-corpus repo=ROCm/rocFFT kind=compiled arch=gfx950 opt=O3
	.text
	.amdgcn_target "amdgcn-amd-amdhsa--gfx950"
	.amdhsa_code_object_version 6
	.protected	bluestein_single_back_len1287_dim1_dp_op_CI_CI ; -- Begin function bluestein_single_back_len1287_dim1_dp_op_CI_CI
	.globl	bluestein_single_back_len1287_dim1_dp_op_CI_CI
	.p2align	8
	.type	bluestein_single_back_len1287_dim1_dp_op_CI_CI,@function
bluestein_single_back_len1287_dim1_dp_op_CI_CI: ; @bluestein_single_back_len1287_dim1_dp_op_CI_CI
; %bb.0:
	s_load_dwordx4 s[8:11], s[0:1], 0x28
	v_mul_u32_u24_e32 v1, 0x231, v0
	v_mov_b32_e32 v69, 0
	v_add_u32_sdwa v6, s2, v1 dst_sel:DWORD dst_unused:UNUSED_PAD src0_sel:DWORD src1_sel:WORD_1
	v_mov_b32_e32 v7, v69
	s_waitcnt lgkmcnt(0)
	v_cmp_gt_u64_e32 vcc, s[8:9], v[6:7]
	s_and_saveexec_b64 s[2:3], vcc
	s_cbranch_execz .LBB0_31
; %bb.1:
	s_load_dwordx4 s[4:7], s[0:1], 0x18
	s_load_dwordx2 s[14:15], s[0:1], 0x0
	v_mov_b32_e32 v2, s10
	v_mov_b32_e32 v3, s11
	s_movk_i32 s2, 0x75
	s_waitcnt lgkmcnt(0)
	s_load_dwordx4 s[8:11], s[4:5], 0x0
	v_mul_lo_u16_sdwa v1, v1, s2 dst_sel:DWORD dst_unused:UNUSED_PAD src0_sel:WORD_1 src1_sel:DWORD
	v_sub_u16_e32 v68, v0, v1
	v_accvgpr_write_b32 a36, v6
	v_lshlrev_b32_e32 v216, 4, v68
	s_waitcnt lgkmcnt(0)
	v_mad_u64_u32 v[0:1], s[2:3], s10, v6, 0
	v_mov_b32_e32 v4, v1
	v_mad_u64_u32 v[4:5], s[2:3], s11, v6, v[4:5]
	v_mov_b32_e32 v1, v4
	v_mad_u64_u32 v[4:5], s[2:3], s8, v68, 0
	v_mov_b32_e32 v6, v5
	v_mad_u64_u32 v[6:7], s[2:3], s9, v68, v[6:7]
	s_mul_i32 s2, s9, 0x1ad
	s_mul_hi_u32 s3, s8, 0x1ad
	v_mov_b32_e32 v5, v6
	v_lshl_add_u64 v[0:1], v[0:1], 4, v[2:3]
	v_mov_b32_e32 v217, v69
	s_add_i32 s3, s3, s2
	s_mul_i32 s2, s8, 0x1ad
	v_lshl_add_u64 v[0:1], v[4:5], 4, v[0:1]
	v_lshl_add_u64 v[38:39], s[14:15], 0, v[216:217]
	s_lshl_b64 s[2:3], s[2:3], 4
	s_movk_i32 s4, 0x1000
	global_load_dwordx4 v[54:57], v216, s[14:15]
	v_lshl_add_u64 v[2:3], v[0:1], 0, s[2:3]
	global_load_dwordx4 v[6:9], v[0:1], off
	global_load_dwordx4 v[10:13], v[2:3], off
	v_add_co_u32_e32 v0, vcc, s4, v38
	s_movk_i32 s4, 0x3000
	s_nop 0
	v_addc_co_u32_e32 v1, vcc, 0, v39, vcc
	s_mul_hi_u32 s5, s8, 0xfffffd1b
	global_load_dwordx4 v[46:49], v[0:1], off offset:2768
	v_add_co_u32_e32 v0, vcc, s4, v38
	s_mul_i32 s4, s9, 0xfffffd1b
	s_sub_i32 s5, s5, s8
	s_add_i32 s17, s5, s4
	s_mul_i32 s16, s8, 0xfffffd1b
	v_lshl_add_u64 v[2:3], v[2:3], 0, s[2:3]
	s_lshl_b64 s[4:5], s[16:17], 4
	global_load_dwordx4 v[14:17], v[2:3], off
	v_addc_co_u32_e32 v1, vcc, 0, v39, vcc
	v_lshl_add_u64 v[2:3], v[2:3], 0, s[4:5]
	s_movk_i32 s8, 0x2000
	global_load_dwordx4 v[50:53], v[0:1], off offset:1440
	global_load_dwordx4 v[62:65], v216, s[14:15] offset:1872
	v_lshl_add_u64 v[4:5], v[2:3], 0, s[2:3]
	global_load_dwordx4 v[18:21], v[2:3], off
	global_load_dwordx4 v[22:25], v[4:5], off
	v_add_co_u32_e32 v2, vcc, s8, v38
	v_lshl_add_u64 v[4:5], v[4:5], 0, s[2:3]
	s_nop 0
	v_addc_co_u32_e32 v3, vcc, 0, v39, vcc
	global_load_dwordx4 v[58:61], v[2:3], off offset:544
	global_load_dwordx4 v[26:29], v[4:5], off
	global_load_dwordx4 v[70:73], v[0:1], off offset:3312
	v_lshl_add_u64 v[4:5], v[4:5], 0, s[4:5]
	global_load_dwordx4 v[30:33], v[4:5], off
	global_load_dwordx4 v[74:77], v216, s[14:15] offset:3744
	v_lshl_add_u64 v[4:5], v[4:5], 0, s[2:3]
	s_movk_i32 s4, 0x4000
	global_load_dwordx4 v[34:37], v[4:5], off
	global_load_dwordx4 v[78:81], v[2:3], off offset:2416
	v_add_co_u32_e32 v2, vcc, s4, v38
	v_accvgpr_write_b32 a0, v38
	s_nop 0
	v_addc_co_u32_e32 v3, vcc, 0, v39, vcc
	v_lshl_add_u64 v[4:5], v[4:5], 0, s[2:3]
	v_accvgpr_write_b32 a1, v39
	global_load_dwordx4 v[82:85], v[2:3], off offset:1088
	global_load_dwordx4 v[38:41], v[4:5], off
	s_load_dwordx2 s[12:13], s[0:1], 0x38
	s_load_dwordx4 s[8:11], s[6:7], 0x0
	s_movk_i32 s4, 0x4e
	v_cmp_gt_u16_e64 s[4:5], s4, v68
	s_waitcnt vmcnt(17)
	v_accvgpr_write_b32 a12, v54
	s_waitcnt vmcnt(16)
	v_mul_f64 v[42:43], v[8:9], v[56:57]
	v_mul_f64 v[44:45], v[6:7], v[56:57]
	v_fmac_f64_e32 v[42:43], v[6:7], v[54:55]
	v_fma_f64 v[44:45], v[8:9], v[54:55], -v[44:45]
	v_accvgpr_write_b32 a13, v55
	v_accvgpr_write_b32 a14, v56
	;; [unrolled: 1-line block ×3, first 2 shown]
	ds_write_b128 v216, v[42:45]
	s_waitcnt vmcnt(14)
	v_mul_f64 v[6:7], v[12:13], v[48:49]
	v_mul_f64 v[8:9], v[10:11], v[48:49]
	v_fmac_f64_e32 v[6:7], v[10:11], v[46:47]
	v_fma_f64 v[8:9], v[12:13], v[46:47], -v[8:9]
	ds_write_b128 v216, v[6:9] offset:6864
	v_accvgpr_write_b32 a4, v46
	v_accvgpr_write_b32 a5, v47
	;; [unrolled: 1-line block ×4, first 2 shown]
	s_waitcnt vmcnt(12)
	v_mul_f64 v[10:11], v[16:17], v[52:53]
	v_mul_f64 v[12:13], v[14:15], v[52:53]
	s_waitcnt vmcnt(10)
	v_mul_f64 v[6:7], v[20:21], v[64:65]
	v_mul_f64 v[8:9], v[18:19], v[64:65]
	v_fmac_f64_e32 v[6:7], v[18:19], v[62:63]
	v_fma_f64 v[8:9], v[20:21], v[62:63], -v[8:9]
	ds_write_b128 v216, v[6:9] offset:1872
	v_accvgpr_write_b32 a8, v50
	v_accvgpr_write_b32 a20, v62
	s_waitcnt vmcnt(8)
	v_mul_f64 v[6:7], v[24:25], v[60:61]
	v_mul_f64 v[8:9], v[22:23], v[60:61]
	v_fmac_f64_e32 v[6:7], v[22:23], v[58:59]
	v_fma_f64 v[8:9], v[24:25], v[58:59], -v[8:9]
	ds_write_b128 v216, v[6:9] offset:8736
	s_waitcnt vmcnt(6)
	v_mul_f64 v[6:7], v[28:29], v[72:73]
	v_mul_f64 v[8:9], v[26:27], v[72:73]
	v_fmac_f64_e32 v[6:7], v[26:27], v[70:71]
	v_fma_f64 v[8:9], v[28:29], v[70:71], -v[8:9]
	ds_write_b128 v216, v[6:9] offset:15600
	s_waitcnt vmcnt(4)
	v_mul_f64 v[6:7], v[32:33], v[76:77]
	v_mul_f64 v[8:9], v[30:31], v[76:77]
	v_fmac_f64_e32 v[6:7], v[30:31], v[74:75]
	v_fma_f64 v[8:9], v[32:33], v[74:75], -v[8:9]
	ds_write_b128 v216, v[6:9] offset:3744
	s_waitcnt vmcnt(2)
	v_mul_f64 v[6:7], v[36:37], v[80:81]
	v_mul_f64 v[8:9], v[34:35], v[80:81]
	v_fmac_f64_e32 v[6:7], v[34:35], v[78:79]
	v_fma_f64 v[8:9], v[36:37], v[78:79], -v[8:9]
	v_accvgpr_write_b32 a16, v58
	v_accvgpr_write_b32 a24, v70
	v_accvgpr_write_b32 a28, v74
	v_accvgpr_write_b32 a32, v78
	ds_write_b128 v216, v[6:9] offset:10608
	s_waitcnt vmcnt(0)
	v_mul_f64 v[6:7], v[40:41], v[84:85]
	v_mul_f64 v[8:9], v[38:39], v[84:85]
	v_accvgpr_write_b32 a38, v82
	v_fmac_f64_e32 v[10:11], v[14:15], v[50:51]
	v_accvgpr_write_b32 a9, v51
	v_accvgpr_write_b32 a10, v52
	;; [unrolled: 1-line block ×3, first 2 shown]
	v_fma_f64 v[12:13], v[16:17], v[50:51], -v[12:13]
	v_accvgpr_write_b32 a21, v63
	v_accvgpr_write_b32 a22, v64
	;; [unrolled: 1-line block ×15, first 2 shown]
	v_fmac_f64_e32 v[6:7], v[38:39], v[82:83]
	v_accvgpr_write_b32 a39, v83
	v_accvgpr_write_b32 a40, v84
	;; [unrolled: 1-line block ×3, first 2 shown]
	v_fma_f64 v[8:9], v[40:41], v[82:83], -v[8:9]
	ds_write_b128 v216, v[10:13] offset:13728
	ds_write_b128 v216, v[6:9] offset:17472
	s_and_saveexec_b64 s[6:7], s[4:5]
	s_cbranch_execz .LBB0_3
; %bb.2:
	v_accvgpr_read_b32 v9, a1
	v_accvgpr_read_b32 v8, a0
	v_add_co_u32_e32 v8, vcc, 0x1000, v8
	v_lshl_add_u64 v[12:13], s[16:17], 4, v[4:5]
	s_nop 0
	v_addc_co_u32_e32 v9, vcc, 0, v9, vcc
	global_load_dwordx4 v[4:7], v[12:13], off
	v_lshl_add_u64 v[20:21], v[12:13], 0, s[2:3]
	global_load_dwordx4 v[8:11], v[8:9], off offset:1520
	s_nop 0
	global_load_dwordx4 v[12:15], v[20:21], off
	global_load_dwordx4 v[16:19], v[0:1], off offset:192
	v_lshl_add_u64 v[0:1], v[20:21], 0, s[2:3]
	global_load_dwordx4 v[20:23], v[2:3], off offset:2960
	global_load_dwordx4 v[24:27], v[0:1], off
	s_waitcnt vmcnt(4)
	v_mul_f64 v[0:1], v[6:7], v[10:11]
	v_mul_f64 v[2:3], v[4:5], v[10:11]
	v_fmac_f64_e32 v[0:1], v[4:5], v[8:9]
	v_fma_f64 v[2:3], v[6:7], v[8:9], -v[2:3]
	s_waitcnt vmcnt(0)
	v_mul_f64 v[4:5], v[26:27], v[22:23]
	v_mul_f64 v[6:7], v[24:25], v[22:23]
	;; [unrolled: 1-line block ×4, first 2 shown]
	v_fmac_f64_e32 v[4:5], v[24:25], v[20:21]
	v_fma_f64 v[6:7], v[26:27], v[20:21], -v[6:7]
	v_fmac_f64_e32 v[10:11], v[12:13], v[16:17]
	v_fma_f64 v[12:13], v[14:15], v[16:17], -v[18:19]
	ds_write_b128 v216, v[0:3] offset:5616
	ds_write_b128 v216, v[10:13] offset:12480
	;; [unrolled: 1-line block ×3, first 2 shown]
.LBB0_3:
	s_or_b64 exec, exec, s[6:7]
	s_waitcnt lgkmcnt(0)
	s_barrier
	ds_read_b128 v[88:91], v216
	ds_read_b128 v[92:95], v216 offset:1872
	ds_read_b128 v[60:63], v216 offset:13728
	;; [unrolled: 1-line block ×8, first 2 shown]
                                        ; implicit-def: $vgpr100_vgpr101
                                        ; implicit-def: $vgpr36_vgpr37
                                        ; implicit-def: $vgpr48_vgpr49
	s_and_saveexec_b64 s[2:3], s[4:5]
	s_cbranch_execz .LBB0_5
; %bb.4:
	ds_read_b128 v[100:103], v216 offset:5616
	ds_read_b128 v[36:39], v216 offset:12480
	;; [unrolled: 1-line block ×3, first 2 shown]
.LBB0_5:
	s_or_b64 exec, exec, s[2:3]
	s_mov_b64 s[2:3], 0x75
	v_lshl_add_u64 v[168:169], v[68:69], 0, s[2:3]
	s_mov_b64 s[2:3], 0xea
	v_lshl_add_u64 v[172:173], v[68:69], 0, s[2:3]
	s_mov_b64 s[2:3], 0x15f
	s_waitcnt lgkmcnt(4)
	v_add_f64 v[0:1], v[88:89], v[64:65]
	v_lshl_add_u64 v[170:171], v[68:69], 0, s[2:3]
	v_add_f64 v[84:85], v[0:1], v[60:61]
	v_add_f64 v[0:1], v[64:65], v[60:61]
	s_mov_b32 s2, 0xe8584caa
	v_fmac_f64_e32 v[88:89], -0.5, v[0:1]
	v_add_f64 v[0:1], v[66:67], -v[62:63]
	s_mov_b32 s3, 0x3febb67a
	s_mov_b32 s7, 0xbfebb67a
	;; [unrolled: 1-line block ×3, first 2 shown]
	v_fma_f64 v[104:105], s[2:3], v[0:1], v[88:89]
	v_fmac_f64_e32 v[88:89], s[6:7], v[0:1]
	v_add_f64 v[0:1], v[90:91], v[66:67]
	v_add_f64 v[86:87], v[0:1], v[62:63]
	v_add_f64 v[0:1], v[66:67], v[62:63]
	v_fmac_f64_e32 v[90:91], -0.5, v[0:1]
	v_add_f64 v[0:1], v[64:65], -v[60:61]
	v_fma_f64 v[106:107], s[6:7], v[0:1], v[90:91]
	v_fmac_f64_e32 v[90:91], s[2:3], v[0:1]
	s_waitcnt lgkmcnt(2)
	v_add_f64 v[0:1], v[92:93], v[56:57]
	v_add_f64 v[108:109], v[0:1], v[52:53]
	;; [unrolled: 1-line block ×3, first 2 shown]
	v_fmac_f64_e32 v[92:93], -0.5, v[0:1]
	v_add_f64 v[0:1], v[58:59], -v[54:55]
	v_fma_f64 v[112:113], s[2:3], v[0:1], v[92:93]
	v_fmac_f64_e32 v[92:93], s[6:7], v[0:1]
	v_add_f64 v[0:1], v[94:95], v[58:59]
	v_add_f64 v[110:111], v[0:1], v[54:55]
	v_add_f64 v[0:1], v[58:59], v[54:55]
	v_fmac_f64_e32 v[94:95], -0.5, v[0:1]
	v_add_f64 v[0:1], v[56:57], -v[52:53]
	v_fma_f64 v[114:115], s[6:7], v[0:1], v[94:95]
	v_fmac_f64_e32 v[94:95], s[2:3], v[0:1]
	s_waitcnt lgkmcnt(1)
	v_add_f64 v[0:1], v[96:97], v[40:41]
	s_waitcnt lgkmcnt(0)
	v_add_f64 v[116:117], v[0:1], v[44:45]
	v_add_f64 v[0:1], v[40:41], v[44:45]
	v_fmac_f64_e32 v[96:97], -0.5, v[0:1]
	v_add_f64 v[0:1], v[42:43], -v[46:47]
	v_fma_f64 v[120:121], s[2:3], v[0:1], v[96:97]
	v_fmac_f64_e32 v[96:97], s[6:7], v[0:1]
	v_add_f64 v[0:1], v[98:99], v[42:43]
	v_add_f64 v[118:119], v[0:1], v[46:47]
	v_add_f64 v[0:1], v[42:43], v[46:47]
	v_fmac_f64_e32 v[98:99], -0.5, v[0:1]
	v_add_f64 v[0:1], v[40:41], -v[44:45]
	v_fma_f64 v[122:123], s[6:7], v[0:1], v[98:99]
	v_fmac_f64_e32 v[98:99], s[2:3], v[0:1]
	v_add_f64 v[0:1], v[100:101], v[36:37]
	;; [unrolled: 7-line block ×3, first 2 shown]
	v_add_f64 v[126:127], v[0:1], v[50:51]
	v_add_f64 v[0:1], v[38:39], v[50:51]
	v_fmac_f64_e32 v[102:103], -0.5, v[0:1]
	v_add_f64 v[0:1], v[36:37], -v[48:49]
	v_fma_f64 v[130:131], s[6:7], v[0:1], v[102:103]
	v_fmac_f64_e32 v[102:103], s[2:3], v[0:1]
	v_mul_lo_u16_e32 v0, 3, v68
	v_lshlrev_b32_e32 v0, 4, v0
	s_barrier
	ds_write_b128 v0, v[84:87]
	ds_write_b128 v0, v[104:107] offset:16
	v_accvgpr_write_b32 a42, v0
	ds_write_b128 v0, v[88:91] offset:32
	v_mul_u32_u24_e32 v0, 3, v168
	s_load_dwordx2 s[0:1], s[0:1], 0x8
	v_lshlrev_b32_e32 v0, 4, v0
	ds_write_b128 v0, v[108:111]
	ds_write_b128 v0, v[112:115] offset:16
	v_accvgpr_write_b32 a43, v0
	ds_write_b128 v0, v[92:95] offset:32
	v_mul_u32_u24_e32 v0, 3, v172
	v_lshlrev_b32_e32 v0, 4, v0
	ds_write_b128 v0, v[116:119]
	ds_write_b128 v0, v[120:123] offset:16
	v_accvgpr_write_b32 a44, v0
	ds_write_b128 v0, v[96:99] offset:32
	v_mul_u32_u24_e32 v0, 3, v170
	v_accvgpr_write_b32 a45, v0
	s_and_saveexec_b64 s[2:3], s[4:5]
	s_cbranch_execz .LBB0_7
; %bb.6:
	v_accvgpr_read_b32 v0, a45
	v_lshlrev_b32_e32 v0, 4, v0
	ds_write_b128 v0, v[124:127]
	ds_write_b128 v0, v[128:131] offset:16
	ds_write_b128 v0, v[100:103] offset:32
.LBB0_7:
	s_or_b64 exec, exec, s[2:3]
	s_movk_i32 s2, 0x63
	v_cmp_gt_u16_e64 s[2:3], s2, v68
	s_waitcnt lgkmcnt(0)
	s_barrier
	s_waitcnt lgkmcnt(0)
                                        ; implicit-def: $vgpr132_vgpr133
	s_and_saveexec_b64 s[6:7], s[2:3]
	s_cbranch_execz .LBB0_9
; %bb.8:
	ds_read_b128 v[84:87], v216
	ds_read_b128 v[104:107], v216 offset:1584
	ds_read_b128 v[88:91], v216 offset:3168
	;; [unrolled: 1-line block ×12, first 2 shown]
.LBB0_9:
	s_or_b64 exec, exec, s[6:7]
	s_movk_i32 s6, 0xab
	v_mul_lo_u16_sdwa v0, v68, s6 dst_sel:DWORD dst_unused:UNUSED_PAD src0_sel:BYTE_0 src1_sel:DWORD
	v_lshrrev_b16_e32 v169, 9, v0
	v_mul_lo_u16_e32 v0, 3, v169
	v_sub_u16_e32 v0, v68, v0
	v_and_b32_e32 v0, 0xff, v0
	v_accvgpr_write_b32 a3, v0
	v_mul_u32_u24_e32 v0, 12, v0
	v_lshlrev_b32_e32 v0, 4, v0
	v_accvgpr_write_b32 a2, v68
	global_load_dwordx4 v[48:51], v0, s[0:1]
	global_load_dwordx4 v[44:47], v0, s[0:1] offset:16
	global_load_dwordx4 v[40:43], v0, s[0:1] offset:32
	;; [unrolled: 1-line block ×11, first 2 shown]
	s_mov_b32 s20, 0x4267c47c
	s_mov_b32 s6, 0xe00740e9
	;; [unrolled: 1-line block ×36, first 2 shown]
	s_waitcnt lgkmcnt(0)
	s_barrier
	s_waitcnt vmcnt(11)
	v_mul_f64 v[0:1], v[106:107], v[50:51]
	v_mul_f64 v[136:137], v[104:105], v[50:51]
	s_waitcnt vmcnt(10)
	v_mul_f64 v[2:3], v[90:91], v[46:47]
	v_mul_f64 v[138:139], v[88:89], v[46:47]
	v_fma_f64 v[160:161], v[104:105], v[48:49], -v[0:1]
	v_fmac_f64_e32 v[136:137], v[106:107], v[48:49]
	s_waitcnt vmcnt(9)
	v_mul_f64 v[140:141], v[108:109], v[42:43]
	s_waitcnt vmcnt(4)
	v_mul_f64 v[14:15], v[98:99], v[230:231]
	v_mul_f64 v[150:151], v[96:97], v[230:231]
	s_waitcnt vmcnt(2)
	v_mul_f64 v[154:155], v[128:129], v[78:79]
	s_waitcnt vmcnt(1)
	;; [unrolled: 2-line block ×3, first 2 shown]
	v_mul_f64 v[22:23], v[134:135], v[70:71]
	v_mul_f64 v[158:159], v[132:133], v[70:71]
	;; [unrolled: 1-line block ×3, first 2 shown]
	v_fmac_f64_e32 v[156:157], v[102:103], v[72:73]
	v_fma_f64 v[102:103], v[132:133], v[68:69], -v[22:23]
	v_fmac_f64_e32 v[158:159], v[134:135], v[68:69]
	v_fma_f64 v[162:163], v[88:89], v[44:45], -v[2:3]
	v_fmac_f64_e32 v[138:139], v[90:91], v[44:45]
	v_fma_f64 v[192:193], v[96:97], v[228:229], -v[14:15]
	v_fma_f64 v[100:101], v[100:101], v[72:73], -v[20:21]
	v_add_f64 v[188:189], v[160:161], -v[102:103]
	v_add_f64 v[96:97], v[136:137], -v[158:159]
	v_mul_f64 v[4:5], v[110:111], v[42:43]
	v_mul_f64 v[18:19], v[130:131], v[78:79]
	v_fmac_f64_e32 v[140:141], v[110:111], v[40:41]
	v_fmac_f64_e32 v[154:155], v[130:131], v[76:77]
	v_add_f64 v[182:183], v[160:161], v[102:103]
	v_add_f64 v[190:191], v[136:137], v[158:159]
	v_add_f64 v[224:225], v[138:139], -v[156:157]
	v_add_f64 v[202:203], v[162:163], -v[100:101]
	v_mul_f64 v[52:53], v[96:97], s[20:21]
	v_mul_f64 v[204:205], v[188:189], s[20:21]
	;; [unrolled: 1-line block ×3, first 2 shown]
	v_fma_f64 v[164:165], v[108:109], v[40:41], -v[4:5]
	v_fma_f64 v[128:129], v[128:129], v[76:77], -v[18:19]
	v_add_f64 v[194:195], v[162:163], v[100:101]
	v_add_f64 v[198:199], v[138:139], v[156:157]
	v_mul_f64 v[200:201], v[224:225], s[18:19]
	v_mul_f64 v[208:209], v[202:203], s[18:19]
	v_fma_f64 v[0:1], s[6:7], v[182:183], v[52:53]
	v_fma_f64 v[4:5], v[190:191], s[6:7], -v[204:205]
	v_add_f64 v[14:15], v[140:141], -v[154:155]
	v_mul_f64 v[142:143], v[112:113], v[38:39]
	v_fma_f64 v[112:113], v[112:113], v[36:37], -v[6:7]
	v_fma_f64 v[2:3], s[16:17], v[194:195], v[200:201]
	v_fma_f64 v[6:7], v[198:199], s[16:17], -v[208:209]
	v_add_f64 v[0:1], v[84:85], v[0:1]
	v_add_f64 v[4:5], v[86:87], v[4:5]
	;; [unrolled: 1-line block ×3, first 2 shown]
	v_mul_f64 v[212:213], v[14:15], s[34:35]
	v_add_f64 v[0:1], v[2:3], v[0:1]
	v_add_f64 v[2:3], v[6:7], v[4:5]
	v_fma_f64 v[4:5], s[22:23], v[206:207], v[212:213]
	v_add_f64 v[4:5], v[4:5], v[0:1]
	v_add_f64 v[0:1], v[164:165], -v[128:129]
	v_mul_f64 v[152:153], v[124:125], v[82:83]
	v_mul_f64 v[6:7], v[0:1], s[34:35]
	v_fmac_f64_e32 v[142:143], v[114:115], v[36:37]
	v_fmac_f64_e32 v[152:153], v[126:127], v[80:81]
	v_add_f64 v[210:211], v[140:141], v[154:155]
	v_accvgpr_write_b32 a47, v7
	v_mul_f64 v[16:17], v[126:127], v[82:83]
	v_accvgpr_write_b32 a46, v6
	v_fma_f64 v[6:7], v[210:211], s[22:23], -v[6:7]
	v_add_f64 v[30:31], v[142:143], -v[152:153]
	v_fmac_f64_e32 v[150:151], v[98:99], v[228:229]
	v_fma_f64 v[98:99], v[124:125], v[80:81], -v[16:17]
	v_add_f64 v[2:3], v[6:7], v[2:3]
	v_mul_f64 v[6:7], v[30:31], s[36:37]
	v_add_f64 v[214:215], v[112:113], v[98:99]
	v_accvgpr_write_b32 a49, v7
	v_accvgpr_write_b32 a48, v6
	v_fma_f64 v[6:7], s[28:29], v[214:215], v[6:7]
	v_add_f64 v[22:23], v[112:113], -v[98:99]
	v_mul_f64 v[144:145], v[92:93], v[66:67]
	v_add_f64 v[4:5], v[6:7], v[4:5]
	v_mul_f64 v[6:7], v[22:23], s[36:37]
	v_fmac_f64_e32 v[144:145], v[94:95], v[64:65]
	v_add_f64 v[226:227], v[142:143], v[152:153]
	v_accvgpr_write_b32 a51, v7
	v_mul_f64 v[8:9], v[94:95], v[66:67]
	v_accvgpr_write_b32 a50, v6
	v_fma_f64 v[6:7], v[226:227], s[28:29], -v[6:7]
	v_add_f64 v[176:177], v[144:145], -v[150:151]
	v_fma_f64 v[114:115], v[92:93], v[64:65], -v[8:9]
	v_add_f64 v[2:3], v[6:7], v[2:3]
	v_mul_f64 v[6:7], v[176:177], s[38:39]
	v_add_f64 v[232:233], v[114:115], v[192:193]
	v_accvgpr_write_b32 a53, v7
	v_accvgpr_write_b32 a52, v6
	v_fma_f64 v[6:7], s[26:27], v[232:233], v[6:7]
	v_add_f64 v[130:131], v[114:115], -v[192:193]
	v_mul_f64 v[146:147], v[116:117], v[62:63]
	v_mul_f64 v[148:149], v[120:121], v[58:59]
	v_add_f64 v[4:5], v[6:7], v[4:5]
	v_mul_f64 v[6:7], v[130:131], s[38:39]
	v_fmac_f64_e32 v[146:147], v[118:119], v[60:61]
	v_fmac_f64_e32 v[148:149], v[122:123], v[56:57]
	v_add_f64 v[238:239], v[144:145], v[150:151]
	v_accvgpr_write_b32 a55, v7
	v_mul_f64 v[10:11], v[118:119], v[62:63]
	v_mul_f64 v[12:13], v[122:123], v[58:59]
	v_accvgpr_write_b32 a54, v6
	v_fma_f64 v[6:7], v[238:239], s[26:27], -v[6:7]
	v_add_f64 v[106:107], v[146:147], -v[148:149]
	v_fma_f64 v[94:95], v[116:117], v[60:61], -v[10:11]
	v_fma_f64 v[186:187], v[120:121], v[56:57], -v[12:13]
	v_add_f64 v[2:3], v[6:7], v[2:3]
	v_mul_f64 v[6:7], v[106:107], s[42:43]
	v_add_f64 v[248:249], v[94:95], v[186:187]
	v_accvgpr_write_b32 a57, v7
	v_accvgpr_write_b32 a56, v6
	v_fma_f64 v[6:7], s[30:31], v[248:249], v[6:7]
	v_add_f64 v[220:221], v[94:95], -v[186:187]
	v_add_f64 v[132:133], v[6:7], v[4:5]
	v_mul_f64 v[4:5], v[220:221], s[42:43]
	v_add_f64 v[252:253], v[146:147], v[148:149]
	v_accvgpr_write_b32 a59, v5
	v_accvgpr_write_b32 a58, v4
	v_fma_f64 v[4:5], v[252:253], s[30:31], -v[4:5]
	v_add_f64 v[134:135], v[4:5], v[2:3]
	v_mul_f64 v[2:3], v[96:97], s[18:19]
	v_accvgpr_write_b32 a61, v3
	v_mul_f64 v[4:5], v[224:225], s[36:37]
	v_accvgpr_write_b32 a60, v2
	v_fma_f64 v[2:3], s[16:17], v[182:183], v[2:3]
	v_accvgpr_write_b32 a63, v5
	v_add_f64 v[2:3], v[84:85], v[2:3]
	v_accvgpr_write_b32 a62, v4
	v_fma_f64 v[4:5], s[28:29], v[194:195], v[4:5]
	v_mul_f64 v[54:55], v[188:189], s[18:19]
	v_add_f64 v[2:3], v[4:5], v[2:3]
	v_fma_f64 v[4:5], v[190:191], s[16:17], -v[54:55]
	v_mul_f64 v[236:237], v[202:203], s[36:37]
	v_add_f64 v[4:5], v[86:87], v[4:5]
	v_fma_f64 v[6:7], v[198:199], s[28:29], -v[236:237]
	v_mul_f64 v[196:197], v[14:15], s[42:43]
	v_add_f64 v[4:5], v[6:7], v[4:5]
	v_fma_f64 v[6:7], s[30:31], v[206:207], v[196:197]
	v_mul_f64 v[242:243], v[0:1], s[42:43]
	v_add_f64 v[2:3], v[6:7], v[2:3]
	v_fma_f64 v[6:7], v[210:211], s[30:31], -v[242:243]
	v_mul_f64 v[234:235], v[30:31], s[40:41]
	v_add_f64 v[4:5], v[6:7], v[4:5]
	v_fma_f64 v[6:7], s[26:27], v[214:215], v[234:235]
	;; [unrolled: 6-line block ×4, first 2 shown]
	v_mul_f64 v[254:255], v[220:221], s[46:47]
	v_add_f64 v[120:121], v[6:7], v[2:3]
	v_fma_f64 v[2:3], v[252:253], s[6:7], -v[254:255]
	v_add_f64 v[122:123], v[2:3], v[4:5]
	v_mul_f64 v[2:3], v[96:97], s[34:35]
	v_fma_f64 v[4:5], s[22:23], v[182:183], v[2:3]
	v_add_f64 v[6:7], v[84:85], v[4:5]
	v_mul_f64 v[4:5], v[224:225], s[42:43]
	v_fma_f64 v[8:9], s[30:31], v[194:195], v[4:5]
	v_add_f64 v[10:11], v[8:9], v[6:7]
	v_mul_f64 v[8:9], v[188:189], s[34:35]
	v_fma_f64 v[6:7], v[190:191], s[22:23], -v[8:9]
	v_mul_f64 v[12:13], v[202:203], s[42:43]
	v_add_f64 v[6:7], v[86:87], v[6:7]
	v_fma_f64 v[16:17], v[198:199], s[30:31], -v[12:13]
	v_add_f64 v[16:17], v[16:17], v[6:7]
	v_mul_f64 v[6:7], v[14:15], s[50:51]
	v_fma_f64 v[18:19], s[28:29], v[206:207], v[6:7]
	v_add_f64 v[20:21], v[18:19], v[10:11]
	v_mul_f64 v[18:19], v[0:1], s[50:51]
	v_fma_f64 v[10:11], v[210:211], s[28:29], -v[18:19]
	v_add_f64 v[16:17], v[10:11], v[16:17]
	v_mul_f64 v[10:11], v[30:31], s[46:47]
	v_fma_f64 v[24:25], s[6:7], v[214:215], v[10:11]
	v_add_f64 v[20:21], v[24:25], v[20:21]
	v_mul_f64 v[24:25], v[22:23], s[46:47]
	v_fma_f64 v[26:27], v[226:227], s[6:7], -v[24:25]
	v_add_f64 v[28:29], v[26:27], v[16:17]
	v_mul_f64 v[16:17], v[176:177], s[18:19]
	v_fma_f64 v[26:27], s[16:17], v[232:233], v[16:17]
	v_add_f64 v[32:33], v[26:27], v[20:21]
	v_mul_f64 v[26:27], v[130:131], s[18:19]
	v_fma_f64 v[20:21], v[238:239], s[16:17], -v[26:27]
	v_add_f64 v[34:35], v[20:21], v[28:29]
	v_mul_f64 v[20:21], v[106:107], s[38:39]
	v_fma_f64 v[28:29], s[26:27], v[248:249], v[20:21]
	v_add_f64 v[124:125], v[28:29], v[32:33]
	v_mul_f64 v[28:29], v[220:221], s[38:39]
	v_fma_f64 v[32:33], v[252:253], s[26:27], -v[28:29]
	v_add_f64 v[126:127], v[32:33], v[34:35]
	v_mul_f64 v[32:33], v[96:97], s[36:37]
	v_fma_f64 v[34:35], s[28:29], v[182:183], v[32:33]
	v_add_f64 v[88:89], v[84:85], v[34:35]
	v_mul_f64 v[34:35], v[224:225], s[40:41]
	v_fma_f64 v[90:91], s[26:27], v[194:195], v[34:35]
	v_mul_f64 v[218:219], v[188:189], s[36:37]
	v_add_f64 v[88:89], v[90:91], v[88:89]
	v_fma_f64 v[90:91], v[190:191], s[28:29], -v[218:219]
	v_mul_f64 v[178:179], v[202:203], s[40:41]
	v_add_f64 v[90:91], v[86:87], v[90:91]
	v_fma_f64 v[92:93], v[198:199], s[26:27], -v[178:179]
	v_mul_f64 v[166:167], v[14:15], s[46:47]
	v_add_f64 v[90:91], v[92:93], v[90:91]
	v_fma_f64 v[92:93], s[6:7], v[206:207], v[166:167]
	v_mul_f64 v[184:185], v[0:1], s[46:47]
	v_add_f64 v[88:89], v[92:93], v[88:89]
	v_fma_f64 v[92:93], v[210:211], s[6:7], -v[184:185]
	v_mul_f64 v[174:175], v[30:31], s[34:35]
	v_add_f64 v[90:91], v[92:93], v[90:91]
	v_fma_f64 v[92:93], s[22:23], v[214:215], v[174:175]
	;; [unrolled: 6-line block ×4, first 2 shown]
	v_mul_f64 v[110:111], v[220:221], s[52:53]
	v_add_f64 v[116:117], v[92:93], v[88:89]
	v_fma_f64 v[88:89], v[252:253], s[16:17], -v[110:111]
	v_add_f64 v[118:119], v[88:89], v[90:91]
	v_mul_u32_u24_e32 v88, 39, v169
	v_accvgpr_write_b32 a37, v88
	s_and_saveexec_b64 s[24:25], s[2:3]
	s_cbranch_execz .LBB0_11
; %bb.10:
	v_accvgpr_write_b32 a84, v164
	v_accvgpr_write_b32 a76, v186
	;; [unrolled: 1-line block ×3, first 2 shown]
	v_mul_f64 v[164:165], v[190:191], s[30:31]
	v_accvgpr_write_b32 a78, v128
	v_accvgpr_write_b32 a74, v114
	v_accvgpr_write_b32 a77, v187
	v_mul_f64 v[186:187], v[198:199], s[6:7]
	v_accvgpr_write_b32 a82, v162
	v_accvgpr_write_b32 a79, v129
	v_fma_f64 v[128:129], s[48:49], v[188:189], v[164:165]
	v_accvgpr_write_b32 a68, v98
	v_accvgpr_write_b32 a75, v115
	v_mul_f64 v[114:115], v[210:211], s[26:27]
	v_accvgpr_write_b32 a80, v160
	v_accvgpr_write_b32 a83, v163
	v_fma_f64 v[162:163], s[20:21], v[202:203], v[186:187]
	v_add_f64 v[128:129], v[86:87], v[128:129]
	v_accvgpr_write_b32 a70, v94
	v_accvgpr_write_b32 a69, v99
	v_mul_f64 v[98:99], v[226:227], s[16:17]
	v_accvgpr_write_b32 a72, v112
	v_accvgpr_write_b32 a81, v161
	v_fma_f64 v[160:161], s[40:41], v[0:1], v[114:115]
	v_add_f64 v[128:129], v[162:163], v[128:129]
	v_accvgpr_write_b32 a71, v95
	v_mul_f64 v[94:95], v[238:239], s[28:29]
	v_accvgpr_write_b32 a73, v113
	v_fma_f64 v[112:113], s[18:19], v[22:23], v[98:99]
	v_add_f64 v[128:129], v[160:161], v[128:129]
	v_accvgpr_write_b32 a86, v100
	v_mul_f64 v[92:93], v[252:253], s[22:23]
	v_fma_f64 v[90:91], s[50:51], v[130:131], v[94:95]
	v_add_f64 v[112:113], v[112:113], v[128:129]
	v_accvgpr_write_b32 a87, v101
	v_mul_f64 v[100:101], v[96:97], s[42:43]
	v_accvgpr_write_b32 a88, v102
	v_fma_f64 v[88:89], s[34:35], v[220:221], v[92:93]
	v_add_f64 v[90:91], v[90:91], v[112:113]
	v_mul_f64 v[162:163], v[224:225], s[46:47]
	v_accvgpr_write_b32 a89, v103
	v_fma_f64 v[102:103], s[30:31], v[182:183], v[100:101]
	v_fmac_f64_e32 v[164:165], s[42:43], v[188:189]
	v_add_f64 v[90:91], v[88:89], v[90:91]
	v_mul_f64 v[160:161], v[14:15], s[38:39]
	v_fma_f64 v[88:89], s[6:7], v[194:195], v[162:163]
	v_add_f64 v[102:103], v[84:85], v[102:103]
	v_fmac_f64_e32 v[186:187], s[46:47], v[202:203]
	v_add_f64 v[164:165], v[86:87], v[164:165]
	v_mul_f64 v[128:129], v[30:31], s[52:53]
	v_add_f64 v[88:89], v[88:89], v[102:103]
	v_fma_f64 v[102:103], s[26:27], v[206:207], v[160:161]
	v_fmac_f64_e32 v[114:115], s[38:39], v[0:1]
	v_add_f64 v[164:165], v[186:187], v[164:165]
	v_mul_f64 v[112:113], v[176:177], s[36:37]
	v_add_f64 v[88:89], v[102:103], v[88:89]
	v_fma_f64 v[102:103], s[16:17], v[214:215], v[128:129]
	v_fmac_f64_e32 v[98:99], s[52:53], v[22:23]
	v_add_f64 v[114:115], v[114:115], v[164:165]
	v_add_f64 v[88:89], v[102:103], v[88:89]
	v_fma_f64 v[102:103], s[28:29], v[232:233], v[112:113]
	v_fmac_f64_e32 v[94:95], s[36:37], v[130:131]
	v_add_f64 v[98:99], v[98:99], v[114:115]
	v_fma_f64 v[100:101], v[182:183], s[30:31], -v[100:101]
	v_mul_f64 v[164:165], v[190:191], s[26:27]
	v_add_f64 v[88:89], v[102:103], v[88:89]
	v_mul_f64 v[102:103], v[106:107], s[44:45]
	v_accvgpr_write_b32 a90, v192
	v_fmac_f64_e32 v[92:93], s[44:45], v[220:221]
	v_add_f64 v[94:95], v[94:95], v[98:99]
	v_fma_f64 v[98:99], v[232:233], s[28:29], -v[112:113]
	v_fma_f64 v[112:113], v[206:207], s[26:27], -v[160:161]
	;; [unrolled: 1-line block ×3, first 2 shown]
	v_add_f64 v[100:101], v[84:85], v[100:101]
	v_mul_f64 v[160:161], v[198:199], s[22:23]
	v_fma_f64 v[186:187], s[40:41], v[188:189], v[164:165]
	v_accvgpr_write_b32 a91, v193
	v_fma_f64 v[192:193], s[22:23], v[248:249], v[102:103]
	v_add_f64 v[94:95], v[92:93], v[94:95]
	v_fma_f64 v[92:93], v[248:249], s[22:23], -v[102:103]
	v_fma_f64 v[102:103], v[214:215], s[16:17], -v[128:129]
	v_add_f64 v[100:101], v[114:115], v[100:101]
	v_mul_f64 v[128:129], v[210:211], s[16:17]
	v_fma_f64 v[162:163], s[34:35], v[202:203], v[160:161]
	v_add_f64 v[186:187], v[86:87], v[186:187]
	v_add_f64 v[100:101], v[112:113], v[100:101]
	v_mul_f64 v[114:115], v[226:227], s[30:31]
	v_add_f64 v[162:163], v[162:163], v[186:187]
	v_fma_f64 v[186:187], s[52:53], v[0:1], v[128:129]
	v_add_f64 v[88:89], v[192:193], v[88:89]
	v_add_f64 v[100:101], v[102:103], v[100:101]
	v_mul_f64 v[102:103], v[238:239], s[6:7]
	v_add_f64 v[162:163], v[186:187], v[162:163]
	v_fma_f64 v[186:187], s[42:43], v[22:23], v[114:115]
	v_fmac_f64_e32 v[164:165], s[38:39], v[188:189]
	v_accvgpr_write_b32 a64, v88
	v_add_f64 v[98:99], v[98:99], v[100:101]
	v_mul_f64 v[100:101], v[252:253], s[28:29]
	v_fma_f64 v[112:113], s[20:21], v[130:131], v[102:103]
	v_add_f64 v[162:163], v[186:187], v[162:163]
	v_mul_f64 v[186:187], v[96:97], s[38:39]
	v_fmac_f64_e32 v[160:161], s[44:45], v[202:203]
	v_add_f64 v[164:165], v[86:87], v[164:165]
	v_accvgpr_write_b32 a65, v89
	v_accvgpr_write_b32 a66, v90
	;; [unrolled: 1-line block ×3, first 2 shown]
	v_mul_f64 v[90:91], v[182:183], s[6:7]
	v_add_f64 v[92:93], v[92:93], v[98:99]
	v_fma_f64 v[98:99], s[50:51], v[220:221], v[100:101]
	v_add_f64 v[112:113], v[112:113], v[162:163]
	v_mul_f64 v[162:163], v[224:225], s[44:45]
	v_fma_f64 v[96:97], s[26:27], v[182:183], v[186:187]
	v_mul_f64 v[192:193], v[182:183], s[16:17]
	v_fmac_f64_e32 v[102:103], s[46:47], v[130:131]
	v_mul_f64 v[130:131], v[182:183], s[22:23]
	v_fmac_f64_e32 v[128:129], s[18:19], v[0:1]
	v_mul_f64 v[0:1], v[182:183], s[28:29]
	v_add_f64 v[160:161], v[160:161], v[164:165]
	v_fma_f64 v[182:183], v[182:183], s[26:27], -v[186:187]
	v_add_f64 v[98:99], v[98:99], v[112:113]
	v_mul_f64 v[112:113], v[176:177], s[46:47]
	v_mul_f64 v[14:15], v[14:15], s[18:19]
	v_fma_f64 v[176:177], s[22:23], v[194:195], v[162:163]
	v_add_f64 v[96:97], v[84:85], v[96:97]
	v_mul_f64 v[88:89], v[190:191], s[6:7]
	v_fmac_f64_e32 v[114:115], s[48:49], v[22:23]
	v_add_f64 v[128:129], v[128:129], v[160:161]
	v_fma_f64 v[162:163], v[194:195], s[22:23], -v[162:163]
	v_add_f64 v[182:183], v[84:85], v[182:183]
	v_mul_f64 v[30:31], v[30:31], s[48:49]
	v_add_f64 v[96:97], v[176:177], v[96:97]
	v_fma_f64 v[176:177], s[16:17], v[206:207], v[14:15]
	v_accvgpr_write_b32 a93, v89
	v_add_f64 v[114:115], v[114:115], v[128:129]
	v_add_f64 v[162:163], v[162:163], v[182:183]
	v_fma_f64 v[14:15], v[206:207], s[16:17], -v[14:15]
	v_add_f64 v[96:97], v[176:177], v[96:97]
	v_fma_f64 v[176:177], s[30:31], v[214:215], v[30:31]
	v_accvgpr_write_b32 a92, v88
	v_mul_f64 v[224:225], v[190:191], s[28:29]
	v_mul_f64 v[88:89], v[198:199], s[16:17]
	;; [unrolled: 1-line block ×3, first 2 shown]
	v_add_f64 v[102:103], v[102:103], v[114:115]
	v_mul_f64 v[114:115], v[198:199], s[30:31]
	v_mul_f64 v[198:199], v[198:199], s[26:27]
	v_add_f64 v[14:15], v[14:15], v[162:163]
	v_fma_f64 v[30:31], v[214:215], s[30:31], -v[30:31]
	v_mul_f64 v[106:107], v[106:107], s[36:37]
	v_add_f64 v[96:97], v[176:177], v[96:97]
	v_fma_f64 v[176:177], s[6:7], v[232:233], v[112:113]
	v_fmac_f64_e32 v[100:101], s[36:37], v[220:221]
	v_add_f64 v[14:15], v[30:31], v[14:15]
	v_fma_f64 v[30:31], v[232:233], s[6:7], -v[112:113]
	v_add_f64 v[178:179], v[178:179], v[198:199]
	v_add_f64 v[198:199], v[218:219], v[224:225]
	;; [unrolled: 1-line block ×3, first 2 shown]
	v_fma_f64 v[176:177], s[28:29], v[248:249], v[106:107]
	v_mul_f64 v[220:221], v[190:191], s[16:17]
	v_mul_f64 v[22:23], v[190:191], s[22:23]
	v_add_f64 v[14:15], v[30:31], v[14:15]
	v_add_f64 v[190:191], v[100:101], v[102:103]
	v_fma_f64 v[30:31], v[248:249], s[28:29], -v[106:107]
	v_mul_f64 v[100:101], v[210:211], s[6:7]
	v_mul_f64 v[106:107], v[238:239], s[30:31]
	v_add_f64 v[198:199], v[86:87], v[198:199]
	v_add_f64 v[106:107], v[108:109], v[106:107]
	v_mul_f64 v[108:109], v[226:227], s[22:23]
	v_add_f64 v[100:101], v[184:185], v[100:101]
	v_add_f64 v[178:179], v[178:179], v[198:199]
	;; [unrolled: 1-line block ×4, first 2 shown]
	v_mul_f64 v[128:129], v[194:195], s[30:31]
	v_add_f64 v[100:101], v[104:105], v[100:101]
	v_add_f64 v[2:3], v[130:131], -v[2:3]
	v_mul_f64 v[112:113], v[206:207], s[28:29]
	v_add_f64 v[100:101], v[106:107], v[100:101]
	v_mul_f64 v[106:107], v[248:249], s[16:17]
	v_add_f64 v[8:9], v[8:9], v[22:23]
	v_add_f64 v[4:5], v[128:129], -v[4:5]
	v_add_f64 v[2:3], v[84:85], v[2:3]
	v_mul_f64 v[202:203], v[194:195], s[16:17]
	v_mul_f64 v[164:165], v[194:195], s[28:29]
	;; [unrolled: 1-line block ×3, first 2 shown]
	v_add_f64 v[188:189], v[30:31], v[14:15]
	v_mul_f64 v[14:15], v[210:211], s[28:29]
	v_mul_f64 v[198:199], v[214:215], s[6:7]
	v_add_f64 v[106:107], v[106:107], -v[180:181]
	v_mul_f64 v[180:181], v[232:233], s[30:31]
	v_add_f64 v[0:1], v[0:1], -v[32:33]
	v_add_f64 v[12:13], v[12:13], v[114:115]
	v_add_f64 v[8:9], v[86:87], v[8:9]
	v_add_f64 v[6:7], v[112:113], -v[6:7]
	v_add_f64 v[2:3], v[4:5], v[2:3]
	v_mul_f64 v[30:31], v[206:207], s[6:7]
	v_add_f64 v[180:181], v[180:181], -v[222:223]
	v_mul_f64 v[222:223], v[232:233], s[16:17]
	v_add_f64 v[34:35], v[194:195], -v[34:35]
	v_add_f64 v[0:1], v[84:85], v[0:1]
	v_add_f64 v[14:15], v[18:19], v[14:15]
	;; [unrolled: 1-line block ×3, first 2 shown]
	v_add_f64 v[10:11], v[198:199], -v[10:11]
	v_add_f64 v[2:3], v[6:7], v[2:3]
	v_mul_f64 v[108:109], v[214:215], s[28:29]
	v_mul_f64 v[184:185], v[214:215], s[26:27]
	;; [unrolled: 1-line block ×3, first 2 shown]
	v_add_f64 v[30:31], v[30:31], -v[166:167]
	v_add_f64 v[0:1], v[34:35], v[0:1]
	v_add_f64 v[8:9], v[14:15], v[8:9]
	v_add_f64 v[12:13], v[222:223], -v[16:17]
	v_add_f64 v[2:3], v[10:11], v[2:3]
	v_add_f64 v[14:15], v[54:55], v[220:221]
	;; [unrolled: 1-line block ×3, first 2 shown]
	v_mov_b64_e32 v[176:177], v[52:53]
	v_mul_f64 v[182:183], v[210:211], s[22:23]
	v_mov_b64_e32 v[52:53], v[200:201]
	v_mul_f64 v[200:201], v[210:211], s[30:31]
	v_mul_f64 v[210:211], v[226:227], s[6:7]
	v_add_f64 v[174:175], v[214:215], -v[174:175]
	v_add_f64 v[0:1], v[30:31], v[0:1]
	v_add_f64 v[2:3], v[12:13], v[2:3]
	;; [unrolled: 1-line block ×4, first 2 shown]
	v_accvgpr_read_b32 v16, a60
	v_mul_f64 v[224:225], v[238:239], s[16:17]
	v_add_f64 v[0:1], v[174:175], v[0:1]
	v_add_f64 v[24:25], v[24:25], v[210:211]
	v_add_f64 v[12:13], v[12:13], v[14:15]
	v_accvgpr_read_b32 v14, a62
	v_accvgpr_read_b32 v17, a61
	v_mul_f64 v[104:105], v[238:239], s[26:27]
	v_mul_f64 v[214:215], v[238:239], s[22:23]
	;; [unrolled: 1-line block ×3, first 2 shown]
	v_add_f64 v[0:1], v[180:181], v[0:1]
	v_add_f64 v[26:27], v[26:27], v[224:225]
	;; [unrolled: 1-line block ×3, first 2 shown]
	v_accvgpr_read_b32 v15, a63
	v_add_f64 v[16:17], v[192:193], -v[16:17]
	v_mul_f64 v[186:187], v[206:207], s[22:23]
	v_mul_f64 v[162:163], v[206:207], s[30:31]
	;; [unrolled: 1-line block ×6, first 2 shown]
	v_add_f64 v[30:31], v[106:107], v[0:1]
	v_add_f64 v[0:1], v[28:29], v[238:239]
	;; [unrolled: 1-line block ×4, first 2 shown]
	v_add_f64 v[14:15], v[164:165], -v[14:15]
	v_add_f64 v[16:17], v[84:85], v[16:17]
	v_accvgpr_read_b32 v18, a92
	v_add_f64 v[8:9], v[0:1], v[8:9]
	v_add_f64 v[0:1], v[232:233], -v[20:21]
	v_add_f64 v[4:5], v[244:245], v[206:207]
	v_add_f64 v[10:11], v[10:11], v[12:13]
	v_add_f64 v[12:13], v[162:163], -v[196:197]
	v_add_f64 v[14:15], v[14:15], v[16:17]
	v_accvgpr_read_b32 v19, a93
	v_mul_f64 v[102:103], v[252:253], s[16:17]
	v_mul_f64 v[34:35], v[252:253], s[6:7]
	v_add_f64 v[6:7], v[0:1], v[2:3]
	v_add_f64 v[2:3], v[250:251], v[214:215]
	v_add_f64 v[4:5], v[4:5], v[10:11]
	v_add_f64 v[10:11], v[184:185], -v[234:235]
	v_add_f64 v[12:13], v[12:13], v[14:15]
	v_accvgpr_read_b32 v14, a46
	v_add_f64 v[18:19], v[204:205], v[18:19]
	v_add_f64 v[102:103], v[110:111], v[102:103]
	v_mul_f64 v[110:111], v[226:227], s[28:29]
	v_mul_f64 v[226:227], v[248:249], s[6:7]
	v_add_f64 v[0:1], v[254:255], v[34:35]
	v_add_f64 v[2:3], v[2:3], v[4:5]
	v_add_f64 v[4:5], v[218:219], -v[240:241]
	v_add_f64 v[10:11], v[10:11], v[12:13]
	v_accvgpr_read_b32 v12, a50
	v_accvgpr_read_b32 v15, a47
	v_add_f64 v[16:17], v[208:209], v[88:89]
	v_add_f64 v[18:19], v[86:87], v[18:19]
	;; [unrolled: 1-line block ×3, first 2 shown]
	v_add_f64 v[0:1], v[226:227], -v[246:247]
	v_add_f64 v[4:5], v[4:5], v[10:11]
	v_accvgpr_read_b32 v10, a54
	v_accvgpr_read_b32 v13, a51
	v_add_f64 v[14:15], v[14:15], v[182:183]
	v_add_f64 v[16:17], v[16:17], v[18:19]
	;; [unrolled: 1-line block ×3, first 2 shown]
	v_accvgpr_read_b32 v4, a58
	v_accvgpr_read_b32 v11, a55
	v_add_f64 v[12:13], v[12:13], v[110:111]
	v_add_f64 v[14:15], v[14:15], v[16:17]
	v_mul_f64 v[194:195], v[252:253], s[30:31]
	v_accvgpr_read_b32 v5, a59
	v_add_f64 v[10:11], v[10:11], v[104:105]
	v_add_f64 v[12:13], v[12:13], v[14:15]
	v_add_f64 v[20:21], v[90:91], -v[176:177]
	v_add_f64 v[4:5], v[4:5], v[194:195]
	v_add_f64 v[10:11], v[10:11], v[12:13]
	v_accvgpr_read_b32 v14, a48
	v_add_f64 v[18:19], v[202:203], -v[52:53]
	v_add_f64 v[20:21], v[84:85], v[20:21]
	v_add_f64 v[12:13], v[4:5], v[10:11]
	v_accvgpr_read_b32 v10, a52
	v_accvgpr_read_b32 v15, a49
	v_add_f64 v[16:17], v[186:187], -v[212:213]
	v_add_f64 v[18:19], v[18:19], v[20:21]
	v_accvgpr_read_b32 v4, a56
	v_accvgpr_read_b32 v11, a53
	v_add_f64 v[14:15], v[108:109], -v[14:15]
	v_add_f64 v[16:17], v[16:17], v[18:19]
	v_mul_f64 v[166:167], v[248:249], s[30:31]
	v_accvgpr_read_b32 v5, a57
	v_add_f64 v[10:11], v[178:179], -v[10:11]
	v_add_f64 v[14:15], v[14:15], v[16:17]
	v_add_f64 v[4:5], v[166:167], -v[4:5]
	v_add_f64 v[10:11], v[10:11], v[14:15]
	v_add_f64 v[10:11], v[4:5], v[10:11]
	;; [unrolled: 1-line block ×14, first 2 shown]
	v_accvgpr_read_b32 v4, a80
	v_accvgpr_read_b32 v5, a81
	;; [unrolled: 1-line block ×3, first 2 shown]
	v_add_f64 v[4:5], v[84:85], v[4:5]
	v_accvgpr_read_b32 v15, a83
	v_add_f64 v[4:5], v[4:5], v[14:15]
	v_accvgpr_read_b32 v14, a84
	v_accvgpr_read_b32 v15, a85
	v_add_f64 v[4:5], v[4:5], v[14:15]
	v_accvgpr_read_b32 v14, a72
	;; [unrolled: 3-line block ×11, first 2 shown]
	v_accvgpr_read_b32 v5, a37
	v_add_lshl_u32 v4, v5, v4, 4
	v_add_f64 v[32:33], v[102:103], v[100:101]
	ds_write_b128 v4, v[14:17]
	ds_write_b128 v4, v[10:13] offset:48
	ds_write_b128 v4, v[0:3] offset:96
	;; [unrolled: 1-line block ×12, first 2 shown]
.LBB0_11:
	s_or_b64 exec, exec, s[24:25]
	s_waitcnt lgkmcnt(0)
	s_barrier
	ds_read_b128 v[140:143], v216
	ds_read_b128 v[136:139], v216 offset:1872
	ds_read_b128 v[148:151], v216 offset:13728
	;; [unrolled: 1-line block ×8, first 2 shown]
	s_and_saveexec_b64 s[6:7], s[4:5]
	s_cbranch_execz .LBB0_13
; %bb.12:
	ds_read_b128 v[116:119], v216 offset:5616
	ds_read_b128 v[124:127], v216 offset:12480
	;; [unrolled: 1-line block ×3, first 2 shown]
.LBB0_13:
	s_or_b64 exec, exec, s[6:7]
	s_movk_i32 s6, 0xa5
	v_accvgpr_read_b32 v224, a2
	v_mul_lo_u16_sdwa v0, v224, s6 dst_sel:DWORD dst_unused:UNUSED_PAD src0_sel:BYTE_0 src1_sel:DWORD
	v_sub_u16_sdwa v1, v224, v0 dst_sel:DWORD dst_unused:UNUSED_PAD src0_sel:DWORD src1_sel:BYTE_1
	v_lshrrev_b16_e32 v1, 1, v1
	v_and_b32_e32 v1, 0x7f, v1
	v_add_u16_sdwa v0, v1, v0 dst_sel:DWORD dst_unused:UNUSED_PAD src0_sel:DWORD src1_sel:BYTE_1
	v_lshrrev_b16_e32 v0, 5, v0
	v_and_b32_e32 v88, 7, v0
	v_mul_lo_u16_e32 v0, 39, v88
	v_sub_u16_e32 v0, v224, v0
	v_and_b32_e32 v89, 0xff, v0
	v_lshlrev_b32_e32 v0, 5, v89
	v_mul_lo_u16_sdwa v2, v168, s6 dst_sel:DWORD dst_unused:UNUSED_PAD src0_sel:BYTE_0 src1_sel:DWORD
	global_load_dwordx4 v[92:95], v0, s[0:1] offset:592
	global_load_dwordx4 v[96:99], v0, s[0:1] offset:576
	v_sub_u16_sdwa v0, v168, v2 dst_sel:DWORD dst_unused:UNUSED_PAD src0_sel:DWORD src1_sel:BYTE_1
	v_lshrrev_b16_e32 v0, 1, v0
	s_mov_b32 s6, 0xa41b
	v_and_b32_e32 v3, 0x7f, v0
	v_mul_u32_u24_sdwa v0, v172, s6 dst_sel:DWORD dst_unused:UNUSED_PAD src0_sel:WORD_0 src1_sel:DWORD
	v_sub_u16_sdwa v1, v172, v0 dst_sel:DWORD dst_unused:UNUSED_PAD src0_sel:DWORD src1_sel:WORD_1
	v_lshrrev_b16_e32 v1, 1, v1
	v_add_u16_sdwa v0, v1, v0 dst_sel:DWORD dst_unused:UNUSED_PAD src0_sel:DWORD src1_sel:WORD_1
	v_lshrrev_b16_e32 v90, 5, v0
	v_mul_lo_u16_e32 v0, 39, v90
	v_sub_u16_e32 v91, v172, v0
	v_lshlrev_b16_e32 v172, 5, v91
	v_mov_b32_e32 v173, 0
	v_lshl_add_u64 v[0:1], s[0:1], 0, v[172:173]
	global_load_dwordx4 v[100:103], v[0:1], off offset:592
	global_load_dwordx4 v[104:107], v[0:1], off offset:576
	v_mul_u32_u24_sdwa v0, v170, s6 dst_sel:DWORD dst_unused:UNUSED_PAD src0_sel:WORD_0 src1_sel:DWORD
	v_sub_u16_sdwa v1, v170, v0 dst_sel:DWORD dst_unused:UNUSED_PAD src0_sel:DWORD src1_sel:WORD_1
	v_lshrrev_b16_e32 v1, 1, v1
	v_add_u16_sdwa v0, v1, v0 dst_sel:DWORD dst_unused:UNUSED_PAD src0_sel:DWORD src1_sel:WORD_1
	v_lshrrev_b16_e32 v225, 5, v0
	v_mul_lo_u16_e32 v0, 39, v225
	v_sub_u16_e32 v226, v170, v0
	v_lshlrev_b16_e32 v172, 5, v226
	v_lshl_add_u64 v[0:1], s[0:1], 0, v[172:173]
	global_load_dwordx4 v[52:55], v[0:1], off offset:592
	global_load_dwordx4 v[84:87], v[0:1], off offset:576
	v_add_u16_sdwa v0, v3, v2 dst_sel:DWORD dst_unused:UNUSED_PAD src0_sel:DWORD src1_sel:BYTE_1
	v_lshrrev_b16_e32 v0, 5, v0
	v_and_b32_e32 v169, 7, v0
	v_mul_lo_u16_e32 v0, 39, v169
	v_sub_u16_e32 v0, v168, v0
	v_and_b32_e32 v168, 0xff, v0
	v_lshlrev_b32_e32 v0, 5, v168
	global_load_dwordx4 v[112:115], v0, s[0:1] offset:576
	global_load_dwordx4 v[108:111], v0, s[0:1] offset:592
	s_mov_b32 s6, 0xe8584caa
	s_mov_b32 s7, 0x3febb67a
	;; [unrolled: 1-line block ×4, first 2 shown]
	s_movk_i32 s18, 0x75
	s_waitcnt lgkmcnt(0)
	s_barrier
	s_waitcnt vmcnt(7)
	v_mul_f64 v[20:21], v[150:151], v[94:95]
	s_waitcnt vmcnt(6)
	v_mul_f64 v[16:17], v[158:159], v[98:99]
	v_mul_f64 v[18:19], v[156:157], v[98:99]
	;; [unrolled: 1-line block ×3, first 2 shown]
	v_fma_f64 v[28:29], v[156:157], v[96:97], -v[16:17]
	v_fma_f64 v[34:35], v[148:149], v[92:93], -v[20:21]
	v_fmac_f64_e32 v[18:19], v[158:159], v[96:97]
	v_fmac_f64_e32 v[22:23], v[150:151], v[92:93]
	v_add_f64 v[20:21], v[28:29], v[34:35]
	v_add_f64 v[16:17], v[140:141], v[28:29]
	v_fmac_f64_e32 v[140:141], -0.5, v[20:21]
	v_add_f64 v[16:17], v[16:17], v[34:35]
	s_waitcnt vmcnt(5)
	v_mul_f64 v[2:3], v[162:163], v[102:103]
	s_waitcnt vmcnt(4)
	v_mul_f64 v[0:1], v[166:167], v[106:107]
	v_fma_f64 v[12:13], v[164:165], v[104:105], -v[0:1]
	v_fma_f64 v[14:15], v[160:161], v[100:101], -v[2:3]
	v_mul_f64 v[8:9], v[164:165], v[106:107]
	v_mul_f64 v[10:11], v[160:161], v[102:103]
	v_fmac_f64_e32 v[8:9], v[166:167], v[104:105]
	v_fmac_f64_e32 v[10:11], v[162:163], v[100:101]
	s_waitcnt vmcnt(3)
	v_mul_f64 v[6:7], v[122:123], v[54:55]
	s_waitcnt vmcnt(2)
	v_mul_f64 v[4:5], v[126:127], v[86:87]
	v_mul_f64 v[0:1], v[124:125], v[86:87]
	v_mul_f64 v[2:3], v[120:121], v[54:55]
	v_accvgpr_write_b32 a50, v84
	v_accvgpr_write_b32 a46, v52
	v_fma_f64 v[4:5], v[124:125], v[84:85], -v[4:5]
	v_accvgpr_write_b32 a51, v85
	s_waitcnt vmcnt(1)
	v_mul_f64 v[24:25], v[154:155], v[114:115]
	s_waitcnt vmcnt(0)
	v_mul_f64 v[26:27], v[146:147], v[110:111]
	v_mul_f64 v[30:31], v[152:153], v[114:115]
	;; [unrolled: 1-line block ×3, first 2 shown]
	v_accvgpr_write_b32 a52, v86
	v_accvgpr_write_b32 a53, v87
	v_fmac_f64_e32 v[0:1], v[126:127], v[84:85]
	v_fma_f64 v[6:7], v[120:121], v[52:53], -v[6:7]
	v_accvgpr_write_b32 a47, v53
	v_accvgpr_write_b32 a48, v54
	;; [unrolled: 1-line block ×3, first 2 shown]
	v_fmac_f64_e32 v[2:3], v[122:123], v[52:53]
	v_fma_f64 v[52:53], v[152:153], v[112:113], -v[24:25]
	v_fma_f64 v[54:55], v[144:145], v[108:109], -v[26:27]
	v_add_f64 v[24:25], v[18:19], -v[22:23]
	v_add_f64 v[26:27], v[142:143], v[18:19]
	v_add_f64 v[84:85], v[18:19], v[22:23]
	v_fmac_f64_e32 v[30:31], v[154:155], v[112:113]
	v_fmac_f64_e32 v[32:33], v[146:147], v[108:109]
	v_add_f64 v[18:19], v[26:27], v[22:23]
	v_fma_f64 v[20:21], s[6:7], v[24:25], v[140:141]
	v_fmac_f64_e32 v[140:141], s[16:17], v[24:25]
	v_fmac_f64_e32 v[142:143], -0.5, v[84:85]
	v_add_f64 v[24:25], v[28:29], -v[34:35]
	v_add_f64 v[26:27], v[52:53], v[54:55]
	v_fma_f64 v[22:23], s[16:17], v[24:25], v[142:143]
	v_fmac_f64_e32 v[142:143], s[6:7], v[24:25]
	v_add_f64 v[24:25], v[136:137], v[52:53]
	v_fmac_f64_e32 v[136:137], -0.5, v[26:27]
	v_add_f64 v[26:27], v[30:31], -v[32:33]
	v_fma_f64 v[28:29], s[6:7], v[26:27], v[136:137]
	v_fmac_f64_e32 v[136:137], s[16:17], v[26:27]
	v_add_f64 v[26:27], v[138:139], v[30:31]
	v_add_f64 v[30:31], v[30:31], v[32:33]
	;; [unrolled: 1-line block ×3, first 2 shown]
	v_fmac_f64_e32 v[138:139], -0.5, v[30:31]
	v_add_f64 v[32:33], v[52:53], -v[54:55]
	v_add_f64 v[34:35], v[12:13], v[14:15]
	v_fma_f64 v[30:31], s[16:17], v[32:33], v[138:139]
	v_fmac_f64_e32 v[138:139], s[6:7], v[32:33]
	v_add_f64 v[32:33], v[128:129], v[12:13]
	v_fmac_f64_e32 v[128:129], -0.5, v[34:35]
	v_add_f64 v[34:35], v[8:9], -v[10:11]
	v_mul_u32_u24_sdwa v52, v88, s18 dst_sel:DWORD dst_unused:UNUSED_PAD src0_sel:WORD_0 src1_sel:DWORD
	v_fma_f64 v[84:85], s[6:7], v[34:35], v[128:129]
	v_fmac_f64_e32 v[128:129], s[16:17], v[34:35]
	v_add_f64 v[34:35], v[130:131], v[8:9]
	v_add_f64 v[8:9], v[8:9], v[10:11]
	v_add_lshl_u32 v227, v52, v89, 4
	v_fmac_f64_e32 v[130:131], -0.5, v[8:9]
	v_add_f64 v[8:9], v[12:13], -v[14:15]
	ds_write_b128 v227, v[16:19]
	ds_write_b128 v227, v[20:23] offset:624
	ds_write_b128 v227, v[140:143] offset:1248
	v_mul_u32_u24_sdwa v16, v169, s18 dst_sel:DWORD dst_unused:UNUSED_PAD src0_sel:WORD_0 src1_sel:DWORD
	v_add_f64 v[24:25], v[24:25], v[54:55]
	v_fma_f64 v[86:87], s[16:17], v[8:9], v[130:131]
	v_fmac_f64_e32 v[130:131], s[6:7], v[8:9]
	v_add_f64 v[8:9], v[4:5], v[6:7]
	v_add_f64 v[12:13], v[0:1], v[2:3]
	v_add_lshl_u32 v16, v16, v168, 4
	v_add_f64 v[32:33], v[32:33], v[14:15]
	v_add_f64 v[34:35], v[34:35], v[10:11]
	v_fma_f64 v[8:9], -0.5, v[8:9], v[116:117]
	v_add_f64 v[10:11], v[0:1], -v[2:3]
	v_fma_f64 v[12:13], -0.5, v[12:13], v[118:119]
	v_add_f64 v[14:15], v[4:5], -v[6:7]
	ds_write_b128 v16, v[24:27]
	ds_write_b128 v16, v[28:31] offset:624
	v_accvgpr_write_b32 a54, v16
	ds_write_b128 v16, v[136:139] offset:1248
	v_mad_legacy_u16 v16, v90, s18, v91
	v_fma_f64 v[160:161], s[16:17], v[10:11], v[8:9]
	v_fma_f64 v[162:163], s[6:7], v[14:15], v[12:13]
	v_lshlrev_b32_e32 v217, 4, v16
	ds_write_b128 v217, v[32:35]
	ds_write_b128 v217, v[84:87] offset:624
	ds_write_b128 v217, v[128:131] offset:1248
	s_and_saveexec_b64 s[16:17], s[4:5]
	s_cbranch_execz .LBB0_15
; %bb.14:
	v_add_f64 v[0:1], v[118:119], v[0:1]
	v_add_f64 v[2:3], v[0:1], v[2:3]
	;; [unrolled: 1-line block ×3, first 2 shown]
	v_mad_legacy_u16 v4, v225, s18, v226
	v_mul_f64 v[16:17], v[10:11], s[6:7]
	v_mul_f64 v[10:11], v[14:15], s[6:7]
	v_add_f64 v[0:1], v[0:1], v[6:7]
	v_lshlrev_b32_e32 v4, 4, v4
	v_add_f64 v[10:11], v[12:13], -v[10:11]
	v_add_f64 v[8:9], v[16:17], v[8:9]
	ds_write_b128 v4, v[0:3]
	ds_write_b128 v4, v[8:11] offset:624
	ds_write_b128 v4, v[160:163] offset:1248
.LBB0_15:
	s_or_b64 exec, exec, s[16:17]
	s_movk_i32 s6, 0xa0
	v_mov_b64_e32 v[0:1], s[0:1]
	v_mad_u64_u32 v[0:1], s[0:1], v224, s6, v[0:1]
	s_waitcnt lgkmcnt(0)
	s_barrier
	global_load_dwordx4 v[128:131], v[0:1], off offset:1824
	global_load_dwordx4 v[124:127], v[0:1], off offset:1840
	global_load_dwordx4 v[120:123], v[0:1], off offset:1856
	global_load_dwordx4 v[116:119], v[0:1], off offset:1872
	global_load_dwordx4 v[148:151], v[0:1], off offset:1888
	global_load_dwordx4 v[144:147], v[0:1], off offset:1904
	global_load_dwordx4 v[140:143], v[0:1], off offset:1920
	global_load_dwordx4 v[136:139], v[0:1], off offset:1936
	global_load_dwordx4 v[156:159], v[0:1], off offset:1952
	global_load_dwordx4 v[152:155], v[0:1], off offset:1968
	v_lshlrev_b32_e32 v172, 4, v224
	ds_read_b128 v[20:23], v216
	ds_read_b128 v[4:7], v216 offset:1872
	ds_read_b128 v[12:15], v216 offset:3744
	;; [unrolled: 1-line block ×10, first 2 shown]
	v_lshl_add_u64 v[180:181], s[14:15], 0, v[172:173]
	s_mov_b32 s24, 0xf8bb580b
	s_mov_b32 s16, 0x43842ef
	;; [unrolled: 1-line block ×26, first 2 shown]
	s_waitcnt vmcnt(9) lgkmcnt(9)
	v_mul_f64 v[52:53], v[6:7], v[130:131]
	v_mul_f64 v[54:55], v[4:5], v[130:131]
	s_waitcnt vmcnt(8) lgkmcnt(8)
	v_mul_f64 v[172:173], v[14:15], v[126:127]
	v_mul_f64 v[178:179], v[12:13], v[126:127]
	;; [unrolled: 3-line block ×3, first 2 shown]
	v_fma_f64 v[52:53], v[4:5], v[128:129], -v[52:53]
	v_fmac_f64_e32 v[54:55], v[6:7], v[128:129]
	v_mul_f64 v[182:183], v[26:27], v[122:123]
	v_mul_f64 v[16:17], v[24:25], v[122:123]
	v_fma_f64 v[172:173], v[12:13], v[124:125], -v[172:173]
	v_fmac_f64_e32 v[178:179], v[14:15], v[124:125]
	v_fma_f64 v[4:5], v[32:33], v[148:149], -v[186:187]
	v_fmac_f64_e32 v[0:1], v[34:35], v[148:149]
	v_add_f64 v[32:33], v[20:21], v[52:53]
	v_add_f64 v[34:35], v[22:23], v[54:55]
	v_mul_f64 v[184:185], v[30:31], v[118:119]
	v_mul_f64 v[8:9], v[28:29], v[118:119]
	v_fma_f64 v[24:25], v[24:25], v[120:121], -v[182:183]
	v_fmac_f64_e32 v[16:17], v[26:27], v[120:121]
	v_add_f64 v[32:33], v[32:33], v[172:173]
	v_add_f64 v[34:35], v[34:35], v[178:179]
	v_fma_f64 v[12:13], v[28:29], v[116:117], -v[184:185]
	v_fmac_f64_e32 v[8:9], v[30:31], v[116:117]
	v_add_f64 v[32:33], v[32:33], v[24:25]
	v_add_f64 v[34:35], v[34:35], v[16:17]
	s_waitcnt vmcnt(4) lgkmcnt(4)
	v_mul_f64 v[188:189], v[86:87], v[146:147]
	v_mul_f64 v[2:3], v[84:85], v[146:147]
	v_add_f64 v[32:33], v[32:33], v[12:13]
	v_add_f64 v[34:35], v[34:35], v[8:9]
	s_waitcnt vmcnt(3) lgkmcnt(3)
	v_mul_f64 v[190:191], v[90:91], v[142:143]
	v_mul_f64 v[10:11], v[88:89], v[142:143]
	v_fma_f64 v[6:7], v[84:85], v[144:145], -v[188:189]
	v_fmac_f64_e32 v[2:3], v[86:87], v[144:145]
	v_add_f64 v[32:33], v[32:33], v[4:5]
	v_add_f64 v[34:35], v[34:35], v[0:1]
	s_waitcnt vmcnt(2) lgkmcnt(2)
	v_mul_f64 v[192:193], v[166:167], v[138:139]
	v_mul_f64 v[18:19], v[164:165], v[138:139]
	v_fma_f64 v[14:15], v[88:89], v[140:141], -v[190:191]
	v_fmac_f64_e32 v[10:11], v[90:91], v[140:141]
	v_add_f64 v[32:33], v[32:33], v[6:7]
	v_add_f64 v[34:35], v[34:35], v[2:3]
	s_waitcnt vmcnt(1) lgkmcnt(1)
	v_mul_f64 v[194:195], v[170:171], v[158:159]
	v_mul_f64 v[196:197], v[168:169], v[158:159]
	s_waitcnt vmcnt(0) lgkmcnt(0)
	v_mul_f64 v[198:199], v[176:177], v[154:155]
	v_mul_f64 v[200:201], v[174:175], v[154:155]
	v_fma_f64 v[26:27], v[164:165], v[136:137], -v[192:193]
	v_fmac_f64_e32 v[18:19], v[166:167], v[136:137]
	v_add_f64 v[32:33], v[32:33], v[14:15]
	v_add_f64 v[34:35], v[34:35], v[10:11]
	v_fma_f64 v[28:29], v[168:169], v[156:157], -v[194:195]
	v_fmac_f64_e32 v[196:197], v[170:171], v[156:157]
	v_fma_f64 v[30:31], v[174:175], v[152:153], -v[198:199]
	v_fmac_f64_e32 v[200:201], v[176:177], v[152:153]
	v_add_f64 v[32:33], v[32:33], v[26:27]
	v_add_f64 v[34:35], v[34:35], v[18:19]
	;; [unrolled: 1-line block ×4, first 2 shown]
	v_add_f64 v[52:53], v[52:53], -v[30:31]
	v_add_f64 v[54:55], v[54:55], -v[200:201]
	v_add_f64 v[32:33], v[32:33], v[28:29]
	v_add_f64 v[34:35], v[34:35], v[196:197]
	;; [unrolled: 1-line block ×4, first 2 shown]
	v_mul_f64 v[30:31], v[54:55], s[24:25]
	v_mul_f64 v[34:35], v[52:53], s[24:25]
	;; [unrolled: 1-line block ×10, first 2 shown]
	v_fma_f64 v[32:33], v[84:85], s[18:19], -v[30:31]
	v_fma_f64 v[88:89], s[18:19], v[86:87], v[34:35]
	v_fmac_f64_e32 v[30:31], s[18:19], v[84:85]
	v_fma_f64 v[34:35], v[86:87], s[18:19], -v[34:35]
	v_fma_f64 v[164:165], v[84:85], s[0:1], -v[90:91]
	v_fma_f64 v[174:175], s[0:1], v[86:87], v[166:167]
	v_fmac_f64_e32 v[90:91], s[0:1], v[84:85]
	v_fma_f64 v[166:167], v[86:87], s[0:1], -v[166:167]
	v_fma_f64 v[182:183], v[84:85], s[6:7], -v[176:177]
	v_fma_f64 v[186:187], s[6:7], v[86:87], v[184:185]
	v_fmac_f64_e32 v[176:177], s[6:7], v[84:85]
	v_fma_f64 v[184:185], v[86:87], s[6:7], -v[184:185]
	v_fma_f64 v[190:191], v[84:85], s[20:21], -v[188:189]
	v_fma_f64 v[194:195], s[20:21], v[86:87], v[192:193]
	v_fmac_f64_e32 v[188:189], s[20:21], v[84:85]
	v_fma_f64 v[192:193], v[86:87], s[20:21], -v[192:193]
	v_fma_f64 v[198:199], v[84:85], s[26:27], -v[54:55]
	v_fma_f64 v[200:201], s[26:27], v[86:87], v[52:53]
	v_fmac_f64_e32 v[54:55], s[26:27], v[84:85]
	v_fma_f64 v[52:53], v[86:87], s[26:27], -v[52:53]
	v_add_f64 v[84:85], v[178:179], -v[196:197]
	v_add_f64 v[88:89], v[22:23], v[88:89]
	v_add_f64 v[34:35], v[22:23], v[34:35]
	;; [unrolled: 1-line block ×11, first 2 shown]
	v_mul_f64 v[86:87], v[84:85], s[14:15]
	v_add_f64 v[32:33], v[20:21], v[32:33]
	v_add_f64 v[28:29], v[172:173], -v[28:29]
	v_fma_f64 v[172:173], v[52:53], s[0:1], -v[86:87]
	v_add_f64 v[30:31], v[20:21], v[30:31]
	v_add_f64 v[164:165], v[20:21], v[164:165]
	;; [unrolled: 1-line block ×11, first 2 shown]
	v_mul_f64 v[172:173], v[28:29], s[14:15]
	v_fmac_f64_e32 v[86:87], s[0:1], v[52:53]
	v_add_f64 v[30:31], v[86:87], v[30:31]
	v_fma_f64 v[86:87], v[54:55], s[0:1], -v[172:173]
	v_add_f64 v[34:35], v[86:87], v[34:35]
	v_mul_f64 v[86:87], v[84:85], s[22:23]
	v_fma_f64 v[178:179], s[0:1], v[54:55], v[172:173]
	v_fma_f64 v[172:173], v[52:53], s[20:21], -v[86:87]
	v_add_f64 v[164:165], v[172:173], v[164:165]
	v_mul_f64 v[172:173], v[28:29], s[22:23]
	v_fmac_f64_e32 v[86:87], s[20:21], v[52:53]
	v_add_f64 v[86:87], v[86:87], v[90:91]
	v_fma_f64 v[90:91], v[54:55], s[20:21], -v[172:173]
	v_add_f64 v[88:89], v[178:179], v[88:89]
	v_fma_f64 v[178:179], s[20:21], v[54:55], v[172:173]
	v_add_f64 v[90:91], v[90:91], v[166:167]
	v_mul_f64 v[166:167], v[84:85], s[36:37]
	v_add_f64 v[174:175], v[178:179], v[174:175]
	v_fma_f64 v[172:173], v[52:53], s[26:27], -v[166:167]
	v_mul_f64 v[178:179], v[28:29], s[36:37]
	v_fmac_f64_e32 v[166:167], s[26:27], v[52:53]
	v_add_f64 v[172:173], v[172:173], v[182:183]
	v_fma_f64 v[182:183], s[26:27], v[54:55], v[178:179]
	v_add_f64 v[166:167], v[166:167], v[176:177]
	v_fma_f64 v[176:177], v[54:55], s[26:27], -v[178:179]
	v_mul_f64 v[178:179], v[84:85], s[34:35]
	v_add_f64 v[182:183], v[182:183], v[186:187]
	v_add_f64 v[176:177], v[176:177], v[184:185]
	v_fma_f64 v[184:185], v[52:53], s[6:7], -v[178:179]
	v_mul_f64 v[186:187], v[28:29], s[34:35]
	v_add_f64 v[184:185], v[184:185], v[190:191]
	v_fma_f64 v[190:191], s[6:7], v[54:55], v[186:187]
	v_fmac_f64_e32 v[178:179], s[6:7], v[52:53]
	v_fma_f64 v[186:187], v[54:55], s[6:7], -v[186:187]
	v_mul_f64 v[84:85], v[84:85], s[30:31]
	v_mul_f64 v[28:29], v[28:29], s[30:31]
	v_add_f64 v[178:179], v[178:179], v[188:189]
	v_add_f64 v[186:187], v[186:187], v[192:193]
	v_fma_f64 v[188:189], v[52:53], s[18:19], -v[84:85]
	v_fma_f64 v[192:193], s[18:19], v[54:55], v[28:29]
	v_fmac_f64_e32 v[84:85], s[18:19], v[52:53]
	v_fma_f64 v[28:29], v[54:55], s[18:19], -v[28:29]
	v_add_f64 v[52:53], v[16:17], v[18:19]
	v_add_f64 v[16:17], v[16:17], -v[18:19]
	v_add_f64 v[22:23], v[28:29], v[22:23]
	v_add_f64 v[28:29], v[24:25], v[26:27]
	v_mul_f64 v[18:19], v[16:17], s[16:17]
	v_add_f64 v[24:25], v[24:25], -v[26:27]
	v_fma_f64 v[26:27], v[28:29], s[6:7], -v[18:19]
	v_add_f64 v[26:27], v[26:27], v[32:33]
	v_mul_f64 v[32:33], v[24:25], s[16:17]
	v_fmac_f64_e32 v[18:19], s[6:7], v[28:29]
	v_fma_f64 v[54:55], s[6:7], v[52:53], v[32:33]
	v_add_f64 v[18:19], v[18:19], v[30:31]
	v_fma_f64 v[30:31], v[52:53], s[6:7], -v[32:33]
	v_mul_f64 v[32:33], v[16:17], s[36:37]
	v_add_f64 v[20:21], v[84:85], v[20:21]
	v_add_f64 v[30:31], v[30:31], v[34:35]
	v_fma_f64 v[34:35], v[28:29], s[26:27], -v[32:33]
	v_mul_f64 v[84:85], v[24:25], s[36:37]
	v_fmac_f64_e32 v[32:33], s[26:27], v[28:29]
	s_mov_b32 s15, 0x3fed1bb4
	v_add_f64 v[54:55], v[54:55], v[88:89]
	v_fma_f64 v[88:89], s[26:27], v[52:53], v[84:85]
	v_add_f64 v[32:33], v[32:33], v[86:87]
	v_fma_f64 v[84:85], v[52:53], s[26:27], -v[84:85]
	v_mul_f64 v[86:87], v[16:17], s[14:15]
	v_add_f64 v[84:85], v[84:85], v[90:91]
	v_fma_f64 v[90:91], v[28:29], s[0:1], -v[86:87]
	v_fmac_f64_e32 v[86:87], s[0:1], v[28:29]
	v_add_f64 v[34:35], v[34:35], v[164:165]
	v_mul_f64 v[164:165], v[24:25], s[14:15]
	v_add_f64 v[86:87], v[86:87], v[166:167]
	v_mul_f64 v[166:167], v[16:17], s[24:25]
	v_add_f64 v[88:89], v[88:89], v[174:175]
	v_add_f64 v[90:91], v[90:91], v[172:173]
	v_fma_f64 v[172:173], s[0:1], v[52:53], v[164:165]
	v_fma_f64 v[164:165], v[52:53], s[0:1], -v[164:165]
	v_fma_f64 v[174:175], v[28:29], s[18:19], -v[166:167]
	v_fmac_f64_e32 v[166:167], s[18:19], v[28:29]
	v_mul_f64 v[16:17], v[16:17], s[22:23]
	v_add_f64 v[164:165], v[164:165], v[176:177]
	v_mul_f64 v[176:177], v[24:25], s[24:25]
	v_add_f64 v[166:167], v[166:167], v[178:179]
	v_fma_f64 v[178:179], v[28:29], s[20:21], -v[16:17]
	v_mul_f64 v[24:25], v[24:25], s[22:23]
	v_fmac_f64_e32 v[16:17], s[20:21], v[28:29]
	v_add_f64 v[174:175], v[174:175], v[184:185]
	v_fma_f64 v[184:185], s[20:21], v[52:53], v[24:25]
	v_add_f64 v[16:17], v[16:17], v[20:21]
	v_fma_f64 v[20:21], v[52:53], s[20:21], -v[24:25]
	v_add_f64 v[24:25], v[8:9], v[10:11]
	v_add_f64 v[8:9], v[8:9], -v[10:11]
	v_add_f64 v[20:21], v[20:21], v[22:23]
	v_add_f64 v[22:23], v[12:13], v[14:15]
	v_mul_f64 v[10:11], v[8:9], s[22:23]
	v_add_f64 v[12:13], v[12:13], -v[14:15]
	v_fma_f64 v[14:15], v[22:23], s[20:21], -v[10:11]
	v_add_f64 v[14:15], v[14:15], v[26:27]
	v_mul_f64 v[26:27], v[12:13], s[22:23]
	v_fmac_f64_e32 v[10:11], s[20:21], v[22:23]
	v_fma_f64 v[28:29], s[20:21], v[24:25], v[26:27]
	v_add_f64 v[10:11], v[10:11], v[18:19]
	v_fma_f64 v[18:19], v[24:25], s[20:21], -v[26:27]
	v_mul_f64 v[26:27], v[8:9], s[34:35]
	v_add_f64 v[18:19], v[18:19], v[30:31]
	v_fma_f64 v[30:31], v[22:23], s[6:7], -v[26:27]
	v_add_f64 v[30:31], v[30:31], v[34:35]
	v_mul_f64 v[34:35], v[12:13], s[34:35]
	v_fmac_f64_e32 v[26:27], s[6:7], v[22:23]
	v_add_f64 v[26:27], v[26:27], v[32:33]
	v_fma_f64 v[32:33], v[24:25], s[6:7], -v[34:35]
	v_add_f64 v[172:173], v[172:173], v[182:183]
	v_fma_f64 v[182:183], s[18:19], v[52:53], v[176:177]
	v_fma_f64 v[176:177], v[52:53], s[18:19], -v[176:177]
	v_fma_f64 v[52:53], s[6:7], v[24:25], v[34:35]
	v_add_f64 v[32:33], v[32:33], v[84:85]
	v_mul_f64 v[84:85], v[12:13], s[24:25]
	v_add_f64 v[52:53], v[52:53], v[88:89]
	v_mul_f64 v[34:35], v[8:9], s[24:25]
	v_fma_f64 v[88:89], s[18:19], v[24:25], v[84:85]
	v_fma_f64 v[84:85], v[24:25], s[18:19], -v[84:85]
	v_add_f64 v[28:29], v[28:29], v[54:55]
	v_fma_f64 v[54:55], v[22:23], s[18:19], -v[34:35]
	v_fmac_f64_e32 v[34:35], s[18:19], v[22:23]
	v_add_f64 v[84:85], v[84:85], v[164:165]
	v_mul_f64 v[164:165], v[12:13], s[28:29]
	v_add_f64 v[188:189], v[188:189], v[198:199]
	v_add_f64 v[176:177], v[176:177], v[186:187]
	;; [unrolled: 1-line block ×4, first 2 shown]
	v_mul_f64 v[86:87], v[8:9], s[28:29]
	v_fma_f64 v[172:173], s[26:27], v[24:25], v[164:165]
	v_fma_f64 v[164:165], v[24:25], s[26:27], -v[164:165]
	v_mul_f64 v[8:9], v[8:9], s[14:15]
	v_add_f64 v[178:179], v[178:179], v[188:189]
	v_add_f64 v[176:177], v[164:165], v[176:177]
	v_fma_f64 v[164:165], v[22:23], s[0:1], -v[8:9]
	v_mul_f64 v[12:13], v[12:13], s[14:15]
	v_fmac_f64_e32 v[8:9], s[0:1], v[22:23]
	v_add_f64 v[190:191], v[190:191], v[194:195]
	v_add_f64 v[178:179], v[164:165], v[178:179]
	v_fma_f64 v[164:165], s[0:1], v[24:25], v[12:13]
	v_add_f64 v[186:187], v[8:9], v[16:17]
	v_fma_f64 v[8:9], v[24:25], s[0:1], -v[12:13]
	v_add_f64 v[24:25], v[0:1], -v[2:3]
	v_add_f64 v[192:193], v[192:193], v[200:201]
	v_add_f64 v[182:183], v[182:183], v[190:191]
	;; [unrolled: 1-line block ×3, first 2 shown]
	v_add_f64 v[194:195], v[4:5], -v[6:7]
	v_mul_f64 v[4:5], v[24:25], s[28:29]
	v_add_f64 v[184:185], v[184:185], v[192:193]
	v_add_f64 v[192:193], v[0:1], v[2:3]
	v_fma_f64 v[0:1], v[190:191], s[26:27], -v[4:5]
	v_mul_f64 v[6:7], v[194:195], s[28:29]
	v_fmac_f64_e32 v[4:5], s[26:27], v[190:191]
	v_add_f64 v[54:55], v[54:55], v[90:91]
	v_fma_f64 v[90:91], v[22:23], s[26:27], -v[86:87]
	v_add_f64 v[182:183], v[172:173], v[182:183]
	v_add_f64 v[188:189], v[8:9], v[20:21]
	;; [unrolled: 1-line block ×3, first 2 shown]
	v_fma_f64 v[4:5], v[192:193], s[26:27], -v[6:7]
	v_mul_f64 v[8:9], v[24:25], s[30:31]
	v_add_f64 v[90:91], v[90:91], v[174:175]
	v_fma_f64 v[2:3], s[26:27], v[192:193], v[6:7]
	v_add_f64 v[174:175], v[4:5], v[18:19]
	v_fma_f64 v[4:5], v[190:191], s[18:19], -v[8:9]
	v_mul_f64 v[10:11], v[194:195], s[30:31]
	v_fmac_f64_e32 v[8:9], s[18:19], v[190:191]
	v_fmac_f64_e32 v[86:87], s[26:27], v[22:23]
	v_add_f64 v[184:185], v[164:165], v[184:185]
	v_add_f64 v[0:1], v[0:1], v[14:15]
	;; [unrolled: 1-line block ×5, first 2 shown]
	v_fma_f64 v[8:9], v[192:193], s[18:19], -v[10:11]
	v_mul_f64 v[12:13], v[24:25], s[22:23]
	v_mul_f64 v[14:15], v[194:195], s[22:23]
	v_mul_f64 v[20:21], v[24:25], s[14:15]
	v_mul_f64 v[22:23], v[194:195], s[14:15]
	v_mul_f64 v[28:29], v[24:25], s[16:17]
	v_mul_f64 v[30:31], v[194:195], s[16:17]
	v_add_f64 v[86:87], v[86:87], v[166:167]
	v_fma_f64 v[6:7], s[18:19], v[192:193], v[10:11]
	v_add_f64 v[166:167], v[8:9], v[32:33]
	v_fma_f64 v[8:9], v[190:191], s[20:21], -v[12:13]
	v_fma_f64 v[10:11], s[20:21], v[192:193], v[14:15]
	v_fmac_f64_e32 v[12:13], s[20:21], v[190:191]
	v_fma_f64 v[14:15], v[192:193], s[20:21], -v[14:15]
	v_fma_f64 v[16:17], v[190:191], s[0:1], -v[20:21]
	v_fma_f64 v[18:19], s[0:1], v[192:193], v[22:23]
	v_fmac_f64_e32 v[20:21], s[0:1], v[190:191]
	v_fma_f64 v[22:23], v[192:193], s[0:1], -v[22:23]
	;; [unrolled: 4-line block ×3, first 2 shown]
	s_movk_i32 s0, 0x5000
	v_add_f64 v[6:7], v[6:7], v[52:53]
	v_add_f64 v[8:9], v[8:9], v[54:55]
	;; [unrolled: 1-line block ×13, first 2 shown]
	ds_write_b128 v216, v[168:171]
	ds_write_b128 v216, v[0:3] offset:1872
	ds_write_b128 v216, v[4:7] offset:3744
	;; [unrolled: 1-line block ×10, first 2 shown]
	v_add_co_u32_e32 v0, vcc, s0, v180
	s_waitcnt lgkmcnt(0)
	s_nop 0
	v_addc_co_u32_e32 v1, vcc, 0, v181, vcc
	s_barrier
	global_load_dwordx4 v[168:171], v[0:1], off offset:112
	s_movk_i32 s0, 0x6000
	v_add_co_u32_e32 v0, vcc, s0, v180
	s_mov_b32 s0, 0x8000
	s_nop 0
	v_addc_co_u32_e32 v1, vcc, 0, v181, vcc
	global_load_dwordx4 v[176:179], v[0:1], off offset:2880
	v_add_co_u32_e32 v14, vcc, s0, v180
	s_mov_b64 s[0:1], 0x5070
	s_nop 0
	v_addc_co_u32_e32 v15, vcc, 0, v181, vcc
	global_load_dwordx4 v[2:5], v[14:15], off offset:1552
	v_lshl_add_u64 v[0:1], v[180:181], 0, s[0:1]
	global_load_dwordx4 v[6:9], v[0:1], off offset:1872
	s_movk_i32 s0, 0x7000
	v_add_co_u32_e32 v22, vcc, s0, v180
	s_mov_b32 s0, 0x9000
	s_nop 0
	v_addc_co_u32_e32 v23, vcc, 0, v181, vcc
	global_load_dwordx4 v[10:13], v[22:23], off offset:656
	s_nop 0
	global_load_dwordx4 v[14:17], v[14:15], off offset:3424
	s_nop 0
	;; [unrolled: 2-line block ×3, first 2 shown]
	global_load_dwordx4 v[22:25], v[22:23], off offset:2528
	v_add_co_u32_e32 v26, vcc, s0, v180
	s_nop 1
	v_addc_co_u32_e32 v27, vcc, 0, v181, vcc
	global_load_dwordx4 v[26:29], v[26:27], off offset:1200
	ds_read_b128 v[30:33], v216
	ds_read_b128 v[84:87], v216 offset:1872
	ds_read_b128 v[180:183], v216 offset:6864
	s_waitcnt vmcnt(8) lgkmcnt(2)
	v_mul_f64 v[34:35], v[32:33], v[170:171]
	v_mul_f64 v[90:91], v[30:31], v[170:171]
	v_fma_f64 v[88:89], v[30:31], v[168:169], -v[34:35]
	v_fmac_f64_e32 v[90:91], v[32:33], v[168:169]
	ds_read_b128 v[30:33], v216 offset:3744
	ds_read_b128 v[168:171], v216 offset:13728
	ds_write_b128 v216, v[88:91]
	s_waitcnt vmcnt(7) lgkmcnt(3)
	v_mul_f64 v[34:35], v[182:183], v[178:179]
	v_mul_f64 v[90:91], v[180:181], v[178:179]
	v_fma_f64 v[88:89], v[180:181], v[176:177], -v[34:35]
	v_fmac_f64_e32 v[90:91], v[182:183], v[176:177]
	ds_write_b128 v216, v[88:91] offset:6864
	ds_read_b128 v[88:91], v216 offset:15600
	s_waitcnt vmcnt(6) lgkmcnt(3)
	v_mul_f64 v[34:35], v[170:171], v[4:5]
	v_mul_f64 v[178:179], v[168:169], v[4:5]
	v_fma_f64 v[176:177], v[168:169], v[2:3], -v[34:35]
	v_fmac_f64_e32 v[178:179], v[170:171], v[2:3]
	ds_read_b128 v[168:171], v216 offset:8736
	s_waitcnt vmcnt(5)
	v_mul_f64 v[2:3], v[86:87], v[8:9]
	v_mul_f64 v[4:5], v[84:85], v[8:9]
	v_fma_f64 v[2:3], v[84:85], v[6:7], -v[2:3]
	v_fmac_f64_e32 v[4:5], v[86:87], v[6:7]
	ds_write_b128 v216, v[2:5] offset:1872
	ds_read_b128 v[2:5], v216 offset:10608
	s_waitcnt vmcnt(4) lgkmcnt(2)
	v_mul_f64 v[6:7], v[170:171], v[12:13]
	v_mul_f64 v[8:9], v[168:169], v[12:13]
	v_fma_f64 v[6:7], v[168:169], v[10:11], -v[6:7]
	v_fmac_f64_e32 v[8:9], v[170:171], v[10:11]
	ds_write_b128 v216, v[6:9] offset:8736
	s_waitcnt vmcnt(3)
	v_mul_f64 v[6:7], v[90:91], v[16:17]
	v_mul_f64 v[8:9], v[88:89], v[16:17]
	v_fma_f64 v[6:7], v[88:89], v[14:15], -v[6:7]
	v_fmac_f64_e32 v[8:9], v[90:91], v[14:15]
	ds_write_b128 v216, v[6:9] offset:15600
	s_waitcnt vmcnt(2)
	v_mul_f64 v[6:7], v[32:33], v[20:21]
	v_mul_f64 v[8:9], v[30:31], v[20:21]
	v_fma_f64 v[6:7], v[30:31], v[18:19], -v[6:7]
	v_fmac_f64_e32 v[8:9], v[32:33], v[18:19]
	ds_write_b128 v216, v[6:9] offset:3744
	ds_read_b128 v[6:9], v216 offset:17472
	s_waitcnt vmcnt(1) lgkmcnt(4)
	v_mul_f64 v[10:11], v[4:5], v[24:25]
	v_mul_f64 v[12:13], v[2:3], v[24:25]
	v_fma_f64 v[10:11], v[2:3], v[22:23], -v[10:11]
	v_fmac_f64_e32 v[12:13], v[4:5], v[22:23]
	s_waitcnt vmcnt(0) lgkmcnt(0)
	v_mul_f64 v[2:3], v[8:9], v[28:29]
	v_mul_f64 v[4:5], v[6:7], v[28:29]
	v_fma_f64 v[2:3], v[6:7], v[26:27], -v[2:3]
	v_fmac_f64_e32 v[4:5], v[8:9], v[26:27]
	ds_write_b128 v216, v[176:179] offset:13728
	ds_write_b128 v216, v[10:13] offset:10608
	;; [unrolled: 1-line block ×3, first 2 shown]
	s_and_saveexec_b64 s[0:1], s[4:5]
	s_cbranch_execz .LBB0_17
; %bb.16:
	v_add_co_u32_e32 v2, vcc, 0x1000, v0
	s_movk_i32 s6, 0x3000
	s_nop 0
	v_addc_co_u32_e32 v3, vcc, 0, v1, vcc
	v_add_co_u32_e32 v6, vcc, s6, v0
	s_movk_i32 s6, 0x4000
	s_nop 0
	v_addc_co_u32_e32 v7, vcc, 0, v1, vcc
	v_add_co_u32_e32 v0, vcc, s6, v0
	global_load_dwordx4 v[2:5], v[2:3], off offset:1520
	s_nop 0
	global_load_dwordx4 v[6:9], v[6:7], off offset:192
	v_addc_co_u32_e32 v1, vcc, 0, v1, vcc
	global_load_dwordx4 v[10:13], v[0:1], off offset:2960
	ds_read_b128 v[14:17], v216 offset:5616
	ds_read_b128 v[18:21], v216 offset:12480
	;; [unrolled: 1-line block ×3, first 2 shown]
	s_waitcnt vmcnt(2) lgkmcnt(2)
	v_mul_f64 v[0:1], v[16:17], v[4:5]
	v_mul_f64 v[28:29], v[14:15], v[4:5]
	s_waitcnt vmcnt(1) lgkmcnt(1)
	v_mul_f64 v[30:31], v[20:21], v[8:9]
	v_mul_f64 v[4:5], v[18:19], v[8:9]
	s_waitcnt vmcnt(0) lgkmcnt(0)
	v_mul_f64 v[32:33], v[24:25], v[12:13]
	v_mul_f64 v[8:9], v[22:23], v[12:13]
	v_fma_f64 v[26:27], v[14:15], v[2:3], -v[0:1]
	v_fmac_f64_e32 v[28:29], v[16:17], v[2:3]
	v_fma_f64 v[2:3], v[18:19], v[6:7], -v[30:31]
	v_fmac_f64_e32 v[4:5], v[20:21], v[6:7]
	;; [unrolled: 2-line block ×3, first 2 shown]
	ds_write_b128 v216, v[26:29] offset:5616
	ds_write_b128 v216, v[2:5] offset:12480
	;; [unrolled: 1-line block ×3, first 2 shown]
.LBB0_17:
	s_or_b64 exec, exec, s[0:1]
	s_waitcnt lgkmcnt(0)
	s_barrier
	ds_read_b128 v[176:179], v216
	ds_read_b128 v[180:183], v216 offset:1872
	ds_read_b128 v[190:193], v216 offset:13728
	;; [unrolled: 1-line block ×8, first 2 shown]
	s_and_saveexec_b64 s[0:1], s[4:5]
	s_cbranch_execz .LBB0_19
; %bb.18:
	ds_read_b128 v[164:167], v216 offset:5616
	ds_read_b128 v[172:175], v216 offset:12480
	;; [unrolled: 1-line block ×3, first 2 shown]
.LBB0_19:
	s_or_b64 exec, exec, s[0:1]
	s_waitcnt lgkmcnt(4)
	v_add_f64 v[0:1], v[176:177], v[194:195]
	v_add_f64 v[168:169], v[0:1], v[190:191]
	;; [unrolled: 1-line block ×3, first 2 shown]
	s_mov_b32 s0, 0xe8584caa
	v_fmac_f64_e32 v[176:177], -0.5, v[0:1]
	v_add_f64 v[0:1], v[196:197], -v[192:193]
	s_mov_b32 s1, 0xbfebb67a
	s_mov_b32 s7, 0x3febb67a
	;; [unrolled: 1-line block ×3, first 2 shown]
	v_fma_f64 v[188:189], s[0:1], v[0:1], v[176:177]
	v_fmac_f64_e32 v[176:177], s[6:7], v[0:1]
	v_add_f64 v[0:1], v[178:179], v[196:197]
	v_add_f64 v[170:171], v[0:1], v[192:193]
	;; [unrolled: 1-line block ×3, first 2 shown]
	v_fmac_f64_e32 v[178:179], -0.5, v[0:1]
	v_add_f64 v[0:1], v[194:195], -v[190:191]
	v_fma_f64 v[190:191], s[6:7], v[0:1], v[178:179]
	v_fmac_f64_e32 v[178:179], s[0:1], v[0:1]
	s_waitcnt lgkmcnt(2)
	v_add_f64 v[0:1], v[180:181], v[202:203]
	v_add_f64 v[192:193], v[0:1], v[198:199]
	;; [unrolled: 1-line block ×3, first 2 shown]
	v_fmac_f64_e32 v[180:181], -0.5, v[0:1]
	v_add_f64 v[0:1], v[204:205], -v[200:201]
	v_fma_f64 v[196:197], s[0:1], v[0:1], v[180:181]
	v_fmac_f64_e32 v[180:181], s[6:7], v[0:1]
	v_add_f64 v[0:1], v[182:183], v[204:205]
	v_add_f64 v[194:195], v[0:1], v[200:201]
	;; [unrolled: 1-line block ×3, first 2 shown]
	v_fmac_f64_e32 v[182:183], -0.5, v[0:1]
	v_add_f64 v[0:1], v[202:203], -v[198:199]
	v_fma_f64 v[198:199], s[6:7], v[0:1], v[182:183]
	v_fmac_f64_e32 v[182:183], s[0:1], v[0:1]
	s_waitcnt lgkmcnt(1)
	v_add_f64 v[0:1], v[184:185], v[206:207]
	s_waitcnt lgkmcnt(0)
	v_add_f64 v[200:201], v[0:1], v[210:211]
	v_add_f64 v[0:1], v[206:207], v[210:211]
	v_fmac_f64_e32 v[184:185], -0.5, v[0:1]
	v_add_f64 v[0:1], v[208:209], -v[212:213]
	v_fma_f64 v[204:205], s[0:1], v[0:1], v[184:185]
	v_fmac_f64_e32 v[184:185], s[6:7], v[0:1]
	v_add_f64 v[0:1], v[186:187], v[208:209]
	v_add_f64 v[202:203], v[0:1], v[212:213]
	v_add_f64 v[0:1], v[208:209], v[212:213]
	v_fmac_f64_e32 v[186:187], -0.5, v[0:1]
	v_add_f64 v[0:1], v[206:207], -v[210:211]
	v_fma_f64 v[206:207], s[6:7], v[0:1], v[186:187]
	v_fmac_f64_e32 v[186:187], s[0:1], v[0:1]
	v_add_f64 v[0:1], v[164:165], v[172:173]
	;; [unrolled: 7-line block ×3, first 2 shown]
	v_add_f64 v[210:211], v[0:1], v[162:163]
	v_add_f64 v[0:1], v[174:175], v[162:163]
	v_fmac_f64_e32 v[166:167], -0.5, v[0:1]
	v_add_f64 v[0:1], v[172:173], -v[160:161]
	v_fma_f64 v[214:215], s[6:7], v[0:1], v[166:167]
	v_fmac_f64_e32 v[166:167], s[0:1], v[0:1]
	v_accvgpr_read_b32 v0, a42
	s_barrier
	ds_write_b128 v0, v[168:171]
	ds_write_b128 v0, v[188:191] offset:16
	ds_write_b128 v0, v[176:179] offset:32
	v_accvgpr_read_b32 v0, a43
	ds_write_b128 v0, v[192:195]
	ds_write_b128 v0, v[196:199] offset:16
	ds_write_b128 v0, v[180:183] offset:32
	v_accvgpr_read_b32 v0, a44
	ds_write_b128 v0, v[200:203]
	ds_write_b128 v0, v[204:207] offset:16
	ds_write_b128 v0, v[184:187] offset:32
	s_and_saveexec_b64 s[0:1], s[4:5]
	s_cbranch_execz .LBB0_21
; %bb.20:
	v_accvgpr_read_b32 v0, a45
	v_lshlrev_b32_e32 v0, 4, v0
	ds_write_b128 v0, v[208:211]
	ds_write_b128 v0, v[212:215] offset:16
	ds_write_b128 v0, v[164:167] offset:32
.LBB0_21:
	s_or_b64 exec, exec, s[0:1]
	s_waitcnt lgkmcnt(0)
	s_barrier
	s_and_saveexec_b64 s[0:1], s[2:3]
	s_cbranch_execz .LBB0_23
; %bb.22:
	ds_read_b128 v[168:171], v216
	ds_read_b128 v[188:191], v216 offset:1584
	ds_read_b128 v[176:179], v216 offset:3168
	;; [unrolled: 1-line block ×12, first 2 shown]
.LBB0_23:
	s_or_b64 exec, exec, s[0:1]
	s_waitcnt lgkmcnt(11)
	v_mul_f64 v[0:1], v[50:51], v[188:189]
	v_fma_f64 v[52:53], v[48:49], v[190:191], -v[0:1]
	s_waitcnt lgkmcnt(10)
	v_mul_f64 v[0:1], v[46:47], v[176:177]
	v_fma_f64 v[54:55], v[44:45], v[178:179], -v[0:1]
	s_waitcnt lgkmcnt(9)
	v_mul_f64 v[0:1], v[42:43], v[192:193]
	v_mul_f64 v[160:161], v[50:51], v[190:191]
	;; [unrolled: 1-line block ×3, first 2 shown]
	v_fma_f64 v[178:179], v[40:41], v[194:195], -v[0:1]
	s_waitcnt lgkmcnt(8)
	v_mul_f64 v[0:1], v[38:39], v[196:197]
	v_fmac_f64_e32 v[160:161], v[48:49], v[188:189]
	v_fmac_f64_e32 v[162:163], v[44:45], v[176:177]
	v_fma_f64 v[188:189], v[36:37], v[198:199], -v[0:1]
	s_waitcnt lgkmcnt(7)
	v_mul_f64 v[176:177], v[66:67], v[182:183]
	v_mul_f64 v[0:1], v[66:67], v[180:181]
	v_fmac_f64_e32 v[176:177], v[64:65], v[180:181]
	v_fma_f64 v[180:181], v[64:65], v[182:183], -v[0:1]
	s_waitcnt lgkmcnt(6)
	v_mul_f64 v[0:1], v[62:63], v[200:201]
	v_fma_f64 v[182:183], v[60:61], v[202:203], -v[0:1]
	s_waitcnt lgkmcnt(5)
	v_mul_f64 v[0:1], v[58:59], v[204:205]
	v_mul_f64 v[64:65], v[62:63], v[202:203]
	v_fma_f64 v[190:191], v[56:57], v[206:207], -v[0:1]
	s_waitcnt lgkmcnt(4)
	v_mul_f64 v[62:63], v[230:231], v[186:187]
	v_mul_f64 v[0:1], v[230:231], v[184:185]
	v_fmac_f64_e32 v[62:63], v[228:229], v[184:185]
	v_fma_f64 v[184:185], v[228:229], v[186:187], -v[0:1]
	s_waitcnt lgkmcnt(3)
	v_mul_f64 v[66:67], v[82:83], v[210:211]
	v_mul_f64 v[0:1], v[82:83], v[208:209]
	v_fmac_f64_e32 v[66:67], v[80:81], v[208:209]
	;; [unrolled: 5-line block ×5, first 2 shown]
	v_fma_f64 v[68:69], v[68:69], v[134:135], -v[0:1]
	s_mov_b32 s6, 0xebaa3ed8
	v_add_f64 v[132:133], v[52:53], v[68:69]
	s_mov_b32 s7, 0x3fbedb7d
	s_mov_b32 s18, 0x66966769
	v_mul_f64 v[6:7], v[132:133], s[6:7]
	s_mov_b32 s22, 0x2ef20147
	v_add_f64 v[166:167], v[160:161], -v[72:73]
	v_add_f64 v[134:135], v[52:53], -v[68:69]
	s_mov_b32 s14, 0x42a4c3d2
	s_mov_b32 s19, 0xbfefc445
	v_accvgpr_write_b32 a57, v7
	s_mov_b32 s16, 0xb2365da1
	s_mov_b32 s23, 0xbfedeba7
	;; [unrolled: 1-line block ×3, first 2 shown]
	v_mul_f64 v[172:173], v[42:43], v[194:195]
	v_mul_f64 v[174:175], v[38:39], v[198:199]
	v_add_f64 v[70:71], v[160:161], v[72:73]
	s_mov_b32 s0, 0x1ea71119
	s_mov_b32 s15, 0xbfea55e2
	v_mul_f64 v[208:209], v[134:135], s[18:19]
	v_accvgpr_write_b32 a56, v6
	v_fma_f64 v[6:7], s[18:19], v[166:167], v[6:7]
	s_mov_b32 s17, 0xbfd6b1d8
	v_mul_f64 v[234:235], v[134:135], s[22:23]
	v_add_f64 v[198:199], v[54:55], -v[10:11]
	s_mov_b32 s20, 0x93053d00
	s_mov_b32 s29, 0xbfcea1e5
	v_fmac_f64_e32 v[172:173], v[40:41], v[192:193]
	v_fmac_f64_e32 v[64:65], v[60:61], v[200:201]
	v_mul_f64 v[60:61], v[58:59], v[206:207]
	s_mov_b32 s1, 0x3fe22d96
	v_mul_f64 v[192:193], v[134:135], s[14:15]
	v_fma_f64 v[4:5], v[70:71], s[6:7], -v[208:209]
	v_add_f64 v[8:9], v[170:171], v[6:7]
	v_mul_f64 v[16:17], v[132:133], s[16:17]
	v_fma_f64 v[6:7], v[70:71], s[16:17], -v[234:235]
	v_add_f64 v[164:165], v[162:163], v[76:77]
	v_add_f64 v[186:187], v[54:55], v[10:11]
	v_accvgpr_write_b32 a65, v11
	s_mov_b32 s21, 0xbfef11f4
	v_mul_f64 v[74:75], v[198:199], s[28:29]
	v_fmac_f64_e32 v[60:61], v[56:57], v[204:205]
	v_mul_f64 v[194:195], v[132:133], s[0:1]
	v_fma_f64 v[0:1], v[70:71], s[0:1], -v[192:193]
	v_add_f64 v[4:5], v[168:169], v[4:5]
	v_add_f64 v[12:13], v[168:169], v[6:7]
	v_fma_f64 v[6:7], s[22:23], v[166:167], v[16:17]
	v_add_f64 v[204:205], v[162:163], -v[76:77]
	v_accvgpr_write_b32 a64, v10
	v_mul_f64 v[202:203], v[198:199], s[22:23]
	v_mul_f64 v[10:11], v[186:187], s[20:21]
	v_fma_f64 v[18:19], v[164:165], s[20:21], -v[74:75]
	v_add_f64 v[214:215], v[178:179], -v[20:21]
	v_add_f64 v[0:1], v[168:169], v[0:1]
	v_fma_f64 v[2:3], s[14:15], v[166:167], v[194:195]
	v_add_f64 v[14:15], v[170:171], v[6:7]
	v_mul_f64 v[212:213], v[186:187], s[16:17]
	v_fma_f64 v[6:7], v[164:165], s[16:17], -v[202:203]
	v_add_f64 v[18:19], v[18:19], v[4:5]
	v_fma_f64 v[4:5], s[28:29], v[204:205], v[10:11]
	v_add_f64 v[200:201], v[172:173], v[80:81]
	v_add_f64 v[206:207], v[178:179], v[20:21]
	v_accvgpr_write_b32 a63, v21
	v_mul_f64 v[78:79], v[214:215], s[28:29]
	v_add_f64 v[2:3], v[170:171], v[2:3]
	v_add_f64 v[0:1], v[6:7], v[0:1]
	v_fma_f64 v[6:7], s[22:23], v[204:205], v[212:213]
	v_add_f64 v[22:23], v[4:5], v[8:9]
	s_mov_b32 s38, 0x24c2f84
	v_add_f64 v[230:231], v[172:173], -v[80:81]
	v_accvgpr_write_b32 a62, v20
	v_mul_f64 v[8:9], v[206:207], s[20:21]
	v_fma_f64 v[20:21], v[200:201], s[20:21], -v[78:79]
	s_mov_b32 s41, 0x3fedeba7
	s_mov_b32 s40, s22
	v_add_f64 v[2:3], v[6:7], v[2:3]
	s_mov_b32 s24, 0xd0032e0c
	s_mov_b32 s39, 0x3fe5384d
	v_add_f64 v[26:27], v[20:21], v[0:1]
	v_fma_f64 v[0:1], s[28:29], v[230:231], v[8:9]
	v_mul_f64 v[20:21], v[214:215], s[40:41]
	s_mov_b32 s25, 0xbfe7f3cc
	v_mul_f64 v[24:25], v[198:199], s[38:39]
	v_add_f64 v[2:3], v[0:1], v[2:3]
	v_mul_f64 v[30:31], v[206:207], s[16:17]
	v_fma_f64 v[0:1], v[200:201], s[16:17], -v[20:21]
	s_mov_b32 s30, 0xe00740e9
	s_mov_b32 s35, 0x3fddbe06
	;; [unrolled: 1-line block ×3, first 2 shown]
	v_mul_f64 v[244:245], v[186:187], s[24:25]
	v_fma_f64 v[4:5], v[164:165], s[24:25], -v[24:25]
	v_add_f64 v[34:35], v[0:1], v[18:19]
	v_fma_f64 v[0:1], s[40:41], v[230:231], v[30:31]
	s_mov_b32 s31, 0x3fec55a7
	v_mul_f64 v[246:247], v[214:215], s[34:35]
	v_add_f64 v[12:13], v[4:5], v[12:13]
	v_fma_f64 v[4:5], s[38:39], v[204:205], v[244:245]
	v_add_f64 v[22:23], v[0:1], v[22:23]
	v_mul_f64 v[220:221], v[206:207], s[30:31]
	v_fma_f64 v[0:1], v[200:201], s[30:31], -v[246:247]
	v_add_f64 v[14:15], v[4:5], v[14:15]
	v_add_f64 v[12:13], v[0:1], v[12:13]
	v_fma_f64 v[0:1], s[34:35], v[230:231], v[220:221]
	v_fmac_f64_e32 v[174:175], v[36:37], v[196:197]
	v_add_f64 v[14:15], v[0:1], v[14:15]
	v_add_f64 v[0:1], v[188:189], -v[82:83]
	v_add_f64 v[210:211], v[174:175], v[66:67]
	v_add_f64 v[228:229], v[188:189], v[82:83]
	v_mul_f64 v[18:19], v[0:1], s[38:39]
	v_add_f64 v[238:239], v[174:175], -v[66:67]
	v_mul_f64 v[28:29], v[228:229], s[24:25]
	v_fma_f64 v[32:33], v[210:211], s[24:25], -v[18:19]
	v_add_f64 v[26:27], v[32:33], v[26:27]
	v_fma_f64 v[32:33], s[38:39], v[238:239], v[28:29]
	v_add_f64 v[36:37], v[32:33], v[2:3]
	v_mul_f64 v[32:33], v[0:1], s[34:35]
	v_mul_f64 v[248:249], v[228:229], s[30:31]
	v_fma_f64 v[2:3], v[210:211], s[30:31], -v[32:33]
	v_add_f64 v[34:35], v[2:3], v[34:35]
	v_fma_f64 v[2:3], s[34:35], v[238:239], v[248:249]
	v_mul_f64 v[222:223], v[0:1], s[18:19]
	v_add_f64 v[38:39], v[2:3], v[22:23]
	v_mul_f64 v[90:91], v[228:229], s[6:7]
	v_fma_f64 v[2:3], v[210:211], s[6:7], -v[222:223]
	v_add_f64 v[40:41], v[2:3], v[12:13]
	v_fma_f64 v[2:3], s[18:19], v[238:239], v[90:91]
	v_add_f64 v[12:13], v[180:181], -v[184:185]
	s_mov_b32 s43, 0x3fefc445
	s_mov_b32 s42, s18
	v_add_f64 v[14:15], v[2:3], v[14:15]
	v_add_f64 v[232:233], v[176:177], v[62:63]
	;; [unrolled: 1-line block ×3, first 2 shown]
	v_mul_f64 v[240:241], v[12:13], s[42:43]
	v_add_f64 v[22:23], v[176:177], -v[62:63]
	v_mul_f64 v[242:243], v[2:3], s[6:7]
	v_fma_f64 v[42:43], v[232:233], s[6:7], -v[240:241]
	v_add_f64 v[42:43], v[42:43], v[26:27]
	v_fma_f64 v[26:27], s[42:43], v[22:23], v[242:243]
	v_mul_f64 v[252:253], v[12:13], s[14:15]
	v_add_f64 v[36:37], v[26:27], v[36:37]
	v_mul_f64 v[218:219], v[2:3], s[0:1]
	v_fma_f64 v[26:27], v[232:233], s[0:1], -v[252:253]
	s_mov_b32 s45, 0x3fcea1e5
	s_mov_b32 s44, s28
	v_add_f64 v[44:45], v[26:27], v[34:35]
	v_fma_f64 v[26:27], s[14:15], v[22:23], v[218:219]
	v_mul_f64 v[86:87], v[12:13], s[44:45]
	v_add_f64 v[38:39], v[26:27], v[38:39]
	v_mul_f64 v[50:51], v[2:3], s[20:21]
	v_fma_f64 v[26:27], v[232:233], s[20:21], -v[86:87]
	v_add_f64 v[56:57], v[26:27], v[40:41]
	v_fma_f64 v[26:27], s[44:45], v[22:23], v[50:51]
	v_add_f64 v[58:59], v[26:27], v[14:15]
	v_add_f64 v[26:27], v[182:183], -v[190:191]
	v_add_f64 v[236:237], v[64:65], v[60:61]
	v_add_f64 v[14:15], v[182:183], v[190:191]
	v_mul_f64 v[250:251], v[26:27], s[34:35]
	v_add_f64 v[34:35], v[64:65], -v[60:61]
	v_mul_f64 v[254:255], v[14:15], s[30:31]
	v_fma_f64 v[40:41], v[236:237], s[30:31], -v[250:251]
	s_mov_b32 s37, 0xbfe5384d
	s_mov_b32 s36, s38
	v_add_f64 v[40:41], v[40:41], v[42:43]
	v_fma_f64 v[42:43], s[34:35], v[34:35], v[254:255]
	v_mul_f64 v[84:85], v[26:27], s[36:37]
	v_add_f64 v[42:43], v[42:43], v[36:37]
	v_mul_f64 v[88:89], v[14:15], s[24:25]
	v_fma_f64 v[36:37], v[236:237], s[24:25], -v[84:85]
	s_mov_b32 s47, 0x3fea55e2
	s_mov_b32 s46, s14
	v_add_f64 v[44:45], v[36:37], v[44:45]
	v_fma_f64 v[36:37], s[36:37], v[34:35], v[88:89]
	v_mul_f64 v[48:49], v[26:27], s[46:47]
	v_mul_f64 v[196:197], v[14:15], s[0:1]
	v_add_f64 v[46:47], v[36:37], v[38:39]
	v_fma_f64 v[36:37], v[236:237], s[0:1], -v[48:49]
	v_fma_f64 v[38:39], s[46:47], v[34:35], v[196:197]
	v_add_f64 v[36:37], v[36:37], v[56:57]
	v_add_f64 v[38:39], v[38:39], v[58:59]
	s_barrier
	s_and_saveexec_b64 s[26:27], s[2:3]
	s_cbranch_execz .LBB0_25
; %bb.24:
	v_mul_f64 v[4:5], v[70:71], s[0:1]
	v_accvgpr_write_b32 a89, v5
	v_accvgpr_write_b32 a88, v4
	v_mul_f64 v[4:5], v[166:167], s[14:15]
	v_accvgpr_write_b32 a93, v5
	v_accvgpr_write_b32 a92, v4
	;; [unrolled: 3-line block ×4, first 2 shown]
	v_accvgpr_write_b32 a102, v4
	v_mul_f64 v[4:5], v[70:71], s[16:17]
	v_accvgpr_write_b32 a74, v178
	v_accvgpr_write_b32 a105, v193
	v_mul_f64 v[192:193], v[166:167], s[28:29]
	v_accvgpr_write_b32 a78, v180
	v_accvgpr_write_b32 a109, v5
	;; [unrolled: 1-line block ×4, first 2 shown]
	v_mul_f64 v[178:179], v[204:205], s[34:35]
	v_accvgpr_write_b32 a81, v55
	v_accvgpr_write_b32 a79, v181
	v_fma_f64 v[180:181], s[20:21], v[132:133], v[192:193]
	v_accvgpr_write_b32 a108, v4
	v_mul_f64 v[4:5], v[166:167], s[22:23]
	v_accvgpr_write_b32 a100, v202
	v_accvgpr_write_b32 a107, v213
	v_mul_f64 v[212:213], v[230:231], s[36:37]
	v_accvgpr_write_b32 a77, v53
	v_accvgpr_write_b32 a80, v54
	v_fma_f64 v[54:55], s[30:31], v[186:187], v[178:179]
	v_add_f64 v[180:181], v[170:171], v[180:181]
	v_accvgpr_write_b32 a84, v184
	v_accvgpr_write_b32 a115, v5
	;; [unrolled: 1-line block ×4, first 2 shown]
	v_mul_f64 v[202:203], v[238:239], s[46:47]
	v_accvgpr_write_b32 a110, v208
	v_accvgpr_write_b32 a76, v52
	v_fma_f64 v[52:53], s[24:25], v[206:207], v[212:213]
	v_add_f64 v[54:55], v[54:55], v[180:181]
	v_accvgpr_write_b32 a82, v182
	v_accvgpr_write_b32 a85, v185
	v_mul_f64 v[184:185], v[134:135], s[28:29]
	v_accvgpr_write_b32 a87, v83
	v_accvgpr_write_b32 a114, v4
	v_mul_f64 v[4:5], v[164:165], s[16:17]
	v_accvgpr_write_b32 a73, v189
	v_mul_f64 v[188:189], v[22:23], s[22:23]
	v_accvgpr_write_b32 a70, v190
	v_accvgpr_write_b32 a111, v209
	v_fma_f64 v[208:209], s[0:1], v[228:229], v[202:203]
	v_add_f64 v[52:53], v[52:53], v[54:55]
	v_accvgpr_write_b32 a83, v183
	v_mul_f64 v[182:183], v[198:199], s[34:35]
	v_accvgpr_write_b32 a112, v194
	v_accvgpr_write_b32 a86, v82
	v_fma_f64 v[82:83], v[70:71], s[20:21], -v[184:185]
	v_accvgpr_write_b32 a91, v5
	v_mul_f64 v[56:57], v[34:35], s[42:43]
	v_accvgpr_write_b32 a71, v191
	v_fma_f64 v[190:191], s[16:17], v[2:3], v[188:189]
	v_add_f64 v[52:53], v[208:209], v[52:53]
	v_accvgpr_write_b32 a42, v225
	v_mul_f64 v[224:225], v[214:215], s[36:37]
	v_accvgpr_write_b32 a113, v195
	v_fma_f64 v[194:195], v[164:165], s[30:31], -v[182:183]
	v_add_f64 v[82:83], v[168:169], v[82:83]
	v_accvgpr_write_b32 a90, v4
	v_mul_f64 v[4:5], v[204:205], s[22:23]
	v_fma_f64 v[58:59], s[6:7], v[14:15], v[56:57]
	v_add_f64 v[52:53], v[190:191], v[52:53]
	v_mul_f64 v[190:191], v[0:1], s[46:47]
	v_accvgpr_write_b32 a43, v226
	v_accvgpr_write_b32 a44, v227
	v_fma_f64 v[226:227], v[200:201], s[24:25], -v[224:225]
	v_add_f64 v[82:83], v[194:195], v[82:83]
	v_accvgpr_write_b32 a95, v5
	v_add_f64 v[6:7], v[58:59], v[52:53]
	v_mul_f64 v[58:59], v[12:13], s[22:23]
	v_fma_f64 v[208:209], v[210:211], s[0:1], -v[190:191]
	v_add_f64 v[82:83], v[226:227], v[82:83]
	v_accvgpr_write_b32 a94, v4
	v_mul_f64 v[4:5], v[164:165], s[20:21]
	v_mul_f64 v[52:53], v[26:27], s[42:43]
	v_fma_f64 v[180:181], v[232:233], s[16:17], -v[58:59]
	v_add_f64 v[82:83], v[208:209], v[82:83]
	v_accvgpr_write_b32 a99, v5
	v_fma_f64 v[54:55], v[236:237], s[6:7], -v[52:53]
	v_add_f64 v[82:83], v[180:181], v[82:83]
	v_accvgpr_write_b32 a98, v4
	v_add_f64 v[4:5], v[54:55], v[82:83]
	v_fma_f64 v[54:55], v[14:15], s[6:7], -v[56:57]
	v_fma_f64 v[56:57], v[2:3], s[16:17], -v[188:189]
	;; [unrolled: 1-line block ×4, first 2 shown]
	v_add_f64 v[188:189], v[170:171], v[188:189]
	v_fma_f64 v[180:181], v[206:207], s[24:25], -v[212:213]
	v_add_f64 v[178:179], v[178:179], v[188:189]
	v_fma_f64 v[82:83], v[228:229], s[0:1], -v[202:203]
	v_add_f64 v[178:179], v[180:181], v[178:179]
	v_add_f64 v[82:83], v[82:83], v[178:179]
	v_accvgpr_write_b32 a61, v7
	v_add_f64 v[56:57], v[56:57], v[82:83]
	v_fmac_f64_e32 v[184:185], s[20:21], v[70:71]
	v_accvgpr_write_b32 a60, v6
	v_accvgpr_write_b32 a59, v5
	;; [unrolled: 1-line block ×3, first 2 shown]
	v_add_f64 v[6:7], v[54:55], v[56:57]
	v_fmac_f64_e32 v[182:183], s[30:31], v[164:165]
	v_add_f64 v[54:55], v[168:169], v[184:185]
	v_fmac_f64_e32 v[224:225], s[24:25], v[200:201]
	;; [unrolled: 2-line block ×3, first 2 shown]
	v_add_f64 v[54:55], v[224:225], v[54:55]
	v_add_f64 v[54:55], v[190:191], v[54:55]
	v_mul_f64 v[190:191], v[166:167], s[36:37]
	v_mul_f64 v[184:185], v[204:205], s[42:43]
	v_fma_f64 v[192:193], s[24:25], v[132:133], v[190:191]
	v_mul_f64 v[180:181], v[230:231], s[14:15]
	v_fma_f64 v[188:189], s[6:7], v[186:187], v[184:185]
	v_add_f64 v[192:193], v[170:171], v[192:193]
	v_fmac_f64_e32 v[58:59], s[16:17], v[232:233]
	v_mul_f64 v[178:179], v[238:239], s[44:45]
	v_fma_f64 v[182:183], s[0:1], v[206:207], v[180:181]
	v_add_f64 v[188:189], v[188:189], v[192:193]
	v_fmac_f64_e32 v[52:53], s[6:7], v[236:237]
	v_add_f64 v[54:55], v[58:59], v[54:55]
	v_mul_f64 v[82:83], v[22:23], s[34:35]
	v_fma_f64 v[58:59], s[20:21], v[228:229], v[178:179]
	v_add_f64 v[182:183], v[182:183], v[188:189]
	v_add_f64 v[4:5], v[52:53], v[54:55]
	v_mul_f64 v[52:53], v[34:35], s[22:23]
	v_fma_f64 v[56:57], s[30:31], v[2:3], v[82:83]
	v_add_f64 v[58:59], v[58:59], v[182:183]
	v_mul_f64 v[202:203], v[134:135], s[36:37]
	v_fma_f64 v[190:191], v[132:133], s[24:25], -v[190:191]
	v_fma_f64 v[54:55], s[16:17], v[14:15], v[52:53]
	v_add_f64 v[56:57], v[56:57], v[58:59]
	v_mul_f64 v[194:195], v[198:199], s[42:43]
	v_fma_f64 v[208:209], v[70:71], s[24:25], -v[202:203]
	v_fma_f64 v[184:185], v[186:187], s[6:7], -v[184:185]
	v_add_f64 v[190:191], v[170:171], v[190:191]
	v_fmac_f64_e32 v[202:203], s[24:25], v[70:71]
	v_add_f64 v[58:59], v[54:55], v[56:57]
	v_mul_f64 v[192:193], v[214:215], s[14:15]
	v_fma_f64 v[56:57], v[164:165], s[6:7], -v[194:195]
	v_add_f64 v[208:209], v[168:169], v[208:209]
	v_add_f64 v[184:185], v[184:185], v[190:191]
	v_fmac_f64_e32 v[194:195], s[6:7], v[164:165]
	v_add_f64 v[190:191], v[168:169], v[202:203]
	v_accvgpr_write_b32 a69, v7
	v_mul_f64 v[188:189], v[0:1], s[44:45]
	v_add_f64 v[56:57], v[56:57], v[208:209]
	v_fma_f64 v[208:209], v[200:201], s[0:1], -v[192:193]
	v_fma_f64 v[180:181], v[206:207], s[0:1], -v[180:181]
	v_add_f64 v[190:191], v[194:195], v[190:191]
	v_fmac_f64_e32 v[192:193], s[0:1], v[200:201]
	v_accvgpr_write_b32 a68, v6
	v_accvgpr_write_b32 a67, v5
	;; [unrolled: 1-line block ×3, first 2 shown]
	v_mul_f64 v[182:183], v[12:13], s[34:35]
	v_add_f64 v[56:57], v[208:209], v[56:57]
	v_fma_f64 v[208:209], v[210:211], s[20:21], -v[188:189]
	v_add_f64 v[180:181], v[180:181], v[184:185]
	v_fma_f64 v[178:179], v[228:229], s[20:21], -v[178:179]
	v_add_f64 v[190:191], v[192:193], v[190:191]
	v_fmac_f64_e32 v[188:189], s[20:21], v[210:211]
	v_accvgpr_read_b32 v4, a114
	v_mul_f64 v[54:55], v[26:27], s[22:23]
	v_add_f64 v[56:57], v[208:209], v[56:57]
	v_fma_f64 v[208:209], v[232:233], s[30:31], -v[182:183]
	v_add_f64 v[178:179], v[178:179], v[180:181]
	v_fma_f64 v[82:83], v[2:3], s[30:31], -v[82:83]
	v_add_f64 v[188:189], v[188:189], v[190:191]
	v_fmac_f64_e32 v[182:183], s[30:31], v[232:233]
	v_accvgpr_read_b32 v5, a115
	v_add_f64 v[56:57], v[208:209], v[56:57]
	v_fma_f64 v[208:209], v[236:237], s[16:17], -v[54:55]
	v_mul_f64 v[224:225], v[204:205], s[38:39]
	v_add_f64 v[82:83], v[82:83], v[178:179]
	v_mul_f64 v[202:203], v[230:231], s[34:35]
	v_add_f64 v[182:183], v[182:183], v[188:189]
	v_fma_f64 v[52:53], v[14:15], s[16:17], -v[52:53]
	v_fmac_f64_e32 v[54:55], s[16:17], v[236:237]
	v_add_f64 v[16:17], v[16:17], -v[4:5]
	v_add_f64 v[190:191], v[52:53], v[82:83]
	v_add_f64 v[188:189], v[54:55], v[182:183]
	v_mul_f64 v[82:83], v[22:23], s[44:45]
	v_add_f64 v[182:183], v[220:221], -v[202:203]
	v_add_f64 v[202:203], v[244:245], -v[224:225]
	v_add_f64 v[16:17], v[170:171], v[16:17]
	v_add_f64 v[50:51], v[50:51], -v[82:83]
	v_mul_f64 v[82:83], v[238:239], s[18:19]
	v_add_f64 v[16:17], v[202:203], v[16:17]
	v_add_f64 v[82:83], v[90:91], -v[82:83]
	v_add_f64 v[16:17], v[182:183], v[16:17]
	v_add_f64 v[16:17], v[82:83], v[16:17]
	v_mul_f64 v[54:55], v[34:35], s[46:47]
	v_add_f64 v[16:17], v[50:51], v[16:17]
	v_mul_f64 v[50:51], v[236:237], s[0:1]
	v_accvgpr_read_b32 v4, a108
	v_add_f64 v[54:55], v[196:197], -v[54:55]
	v_add_f64 v[48:49], v[50:51], v[48:49]
	v_mul_f64 v[50:51], v[232:233], s[20:21]
	v_accvgpr_read_b32 v5, a109
	v_mul_f64 v[212:213], v[164:165], s[24:25]
	v_add_f64 v[86:87], v[50:51], v[86:87]
	v_add_f64 v[50:51], v[54:55], v[16:17]
	;; [unrolled: 1-line block ×3, first 2 shown]
	v_mul_f64 v[82:83], v[22:23], s[14:15]
	v_add_f64 v[24:25], v[212:213], v[24:25]
	v_add_f64 v[16:17], v[168:169], v[16:17]
	;; [unrolled: 1-line block ×3, first 2 shown]
	v_add_f64 v[24:25], v[218:219], -v[82:83]
	v_accvgpr_read_b32 v83, a57
	v_accvgpr_read_b32 v4, a102
	;; [unrolled: 1-line block ×4, first 2 shown]
	v_add_f64 v[56:57], v[208:209], v[56:57]
	v_mul_f64 v[208:209], v[204:205], s[28:29]
	v_add_f64 v[82:83], v[82:83], -v[4:5]
	v_mul_f64 v[194:195], v[230:231], s[40:41]
	v_add_f64 v[10:11], v[10:11], -v[208:209]
	v_add_f64 v[82:83], v[170:171], v[82:83]
	v_accvgpr_read_b32 v4, a98
	v_add_f64 v[30:31], v[30:31], -v[194:195]
	v_add_f64 v[10:11], v[10:11], v[82:83]
	v_accvgpr_read_b32 v5, a99
	v_add_f64 v[10:11], v[30:31], v[10:11]
	v_add_f64 v[6:7], v[4:5], v[74:75]
	v_accvgpr_read_b32 v4, a96
	v_accvgpr_read_b32 v30, a110
	;; [unrolled: 1-line block ×4, first 2 shown]
	v_add_f64 v[30:31], v[4:5], v[30:31]
	v_mul_f64 v[178:179], v[200:201], s[16:17]
	v_mul_f64 v[196:197], v[238:239], s[34:35]
	v_add_f64 v[30:31], v[168:169], v[30:31]
	v_add_f64 v[54:55], v[248:249], -v[196:197]
	v_add_f64 v[20:21], v[178:179], v[20:21]
	v_add_f64 v[6:7], v[6:7], v[30:31]
	v_mul_f64 v[192:193], v[200:201], s[30:31]
	v_mul_f64 v[90:91], v[210:211], s[30:31]
	v_add_f64 v[10:11], v[54:55], v[10:11]
	v_add_f64 v[6:7], v[20:21], v[6:7]
	v_accvgpr_read_b32 v4, a94
	v_accvgpr_read_b32 v20, a106
	v_mul_f64 v[220:221], v[210:211], s[6:7]
	v_add_f64 v[192:193], v[192:193], v[246:247]
	v_add_f64 v[10:11], v[24:25], v[10:11]
	;; [unrolled: 1-line block ×3, first 2 shown]
	v_accvgpr_read_b32 v5, a95
	v_accvgpr_read_b32 v21, a107
	v_add_f64 v[220:221], v[220:221], v[222:223]
	v_add_f64 v[16:17], v[192:193], v[16:17]
	;; [unrolled: 1-line block ×3, first 2 shown]
	v_add_f64 v[20:21], v[20:21], -v[4:5]
	v_accvgpr_read_b32 v4, a92
	v_accvgpr_read_b32 v24, a112
	v_add_f64 v[16:17], v[220:221], v[16:17]
	v_accvgpr_read_b32 v5, a93
	v_accvgpr_read_b32 v25, a113
	v_mul_f64 v[212:213], v[34:35], s[36:37]
	v_add_f64 v[16:17], v[86:87], v[16:17]
	v_add_f64 v[24:25], v[24:25], -v[4:5]
	v_mul_f64 v[180:181], v[230:231], s[28:29]
	v_mul_f64 v[182:183], v[232:233], s[0:1]
	v_add_f64 v[48:49], v[48:49], v[16:17]
	v_add_f64 v[16:17], v[88:89], -v[212:213]
	v_add_f64 v[24:25], v[170:171], v[24:25]
	v_mul_f64 v[52:53], v[238:239], s[38:39]
	v_add_f64 v[86:87], v[16:17], v[10:11]
	v_add_f64 v[16:17], v[182:183], v[252:253]
	v_add_f64 v[8:9], v[8:9], -v[180:181]
	v_add_f64 v[20:21], v[20:21], v[24:25]
	v_mul_f64 v[226:227], v[210:211], s[24:25]
	v_add_f64 v[6:7], v[16:17], v[6:7]
	v_add_f64 v[16:17], v[28:29], -v[52:53]
	v_add_f64 v[8:9], v[8:9], v[20:21]
	v_add_f64 v[8:9], v[16:17], v[8:9]
	;; [unrolled: 1-line block ×3, first 2 shown]
	v_accvgpr_read_b32 v18, a90
	v_accvgpr_read_b32 v20, a100
	;; [unrolled: 1-line block ×4, first 2 shown]
	v_add_f64 v[18:19], v[18:19], v[20:21]
	v_accvgpr_read_b32 v20, a88
	v_accvgpr_read_b32 v24, a104
	;; [unrolled: 1-line block ×4, first 2 shown]
	v_add_f64 v[20:21], v[20:21], v[24:25]
	v_mul_f64 v[184:185], v[200:201], s[20:21]
	v_mul_f64 v[246:247], v[236:237], s[24:25]
	v_add_f64 v[20:21], v[168:169], v[20:21]
	v_mul_f64 v[202:203], v[22:23], s[42:43]
	v_add_f64 v[10:11], v[246:247], v[84:85]
	v_add_f64 v[4:5], v[184:185], v[78:79]
	;; [unrolled: 1-line block ×3, first 2 shown]
	v_mul_f64 v[224:225], v[232:233], s[6:7]
	v_mul_f64 v[222:223], v[34:35], s[34:35]
	v_add_f64 v[84:85], v[10:11], v[6:7]
	v_add_f64 v[10:11], v[242:243], -v[202:203]
	v_add_f64 v[4:5], v[4:5], v[18:19]
	s_mov_b32 s35, 0xbfddbe06
	v_mul_f64 v[244:245], v[236:237], s[30:31]
	v_add_f64 v[6:7], v[254:255], -v[222:223]
	v_add_f64 v[8:9], v[10:11], v[8:9]
	v_add_f64 v[10:11], v[224:225], v[240:241]
	;; [unrolled: 1-line block ×3, first 2 shown]
	v_mul_f64 v[16:17], v[34:35], s[28:29]
	v_mul_f64 v[18:19], v[22:23], s[36:37]
	;; [unrolled: 1-line block ×4, first 2 shown]
	v_add_f64 v[6:7], v[6:7], v[8:9]
	v_add_f64 v[8:9], v[244:245], v[250:251]
	;; [unrolled: 1-line block ×3, first 2 shown]
	v_fma_f64 v[10:11], s[24:25], v[2:3], v[18:19]
	v_mul_f64 v[20:21], v[238:239], s[22:23]
	v_fma_f64 v[28:29], s[6:7], v[206:207], v[24:25]
	v_mul_f64 v[30:31], v[204:205], s[14:15]
	v_fma_f64 v[2:3], v[2:3], s[24:25], -v[18:19]
	v_fma_f64 v[18:19], v[206:207], s[6:7], -v[24:25]
	;; [unrolled: 1-line block ×3, first 2 shown]
	v_add_f64 v[4:5], v[8:9], v[4:5]
	v_fma_f64 v[8:9], s[20:21], v[14:15], v[16:17]
	v_fma_f64 v[22:23], s[16:17], v[228:229], v[20:21]
	v_fma_f64 v[14:15], v[14:15], s[20:21], -v[16:17]
	v_fma_f64 v[16:17], v[228:229], s[16:17], -v[20:21]
	;; [unrolled: 1-line block ×3, first 2 shown]
	v_add_f64 v[24:25], v[170:171], v[24:25]
	v_add_f64 v[20:21], v[20:21], v[24:25]
	v_fma_f64 v[52:53], s[30:31], v[132:133], v[34:35]
	v_add_f64 v[18:19], v[18:19], v[20:21]
	v_fma_f64 v[32:33], s[0:1], v[186:187], v[30:31]
	v_add_f64 v[52:53], v[170:171], v[52:53]
	v_mul_f64 v[88:89], v[134:135], s[34:35]
	v_add_f64 v[16:17], v[16:17], v[18:19]
	v_add_f64 v[32:33], v[32:33], v[52:53]
	v_mul_f64 v[54:55], v[198:199], s[14:15]
	v_fma_f64 v[90:91], v[70:71], s[30:31], -v[88:89]
	v_add_f64 v[2:3], v[2:3], v[16:17]
	v_fmac_f64_e32 v[88:89], s[30:31], v[70:71]
	v_add_f64 v[28:29], v[28:29], v[32:33]
	v_mul_f64 v[32:33], v[214:215], s[18:19]
	v_fma_f64 v[82:83], v[164:165], s[0:1], -v[54:55]
	v_add_f64 v[2:3], v[14:15], v[2:3]
	v_fmac_f64_e32 v[54:55], s[0:1], v[164:165]
	v_add_f64 v[14:15], v[168:169], v[88:89]
	v_mul_f64 v[0:1], v[0:1], s[22:23]
	v_fma_f64 v[52:53], v[200:201], s[6:7], -v[32:33]
	v_fmac_f64_e32 v[32:33], s[6:7], v[200:201]
	v_add_f64 v[14:15], v[54:55], v[14:15]
	v_add_f64 v[22:23], v[22:23], v[28:29]
	v_mul_f64 v[12:13], v[12:13], s[36:37]
	v_fma_f64 v[28:29], v[210:211], s[16:17], -v[0:1]
	v_fmac_f64_e32 v[0:1], s[16:17], v[210:211]
	v_add_f64 v[14:15], v[32:33], v[14:15]
	;; [unrolled: 5-line block ×3, first 2 shown]
	v_add_f64 v[0:1], v[12:13], v[0:1]
	v_accvgpr_read_b32 v12, a76
	v_accvgpr_read_b32 v13, a77
	;; [unrolled: 1-line block ×3, first 2 shown]
	v_add_f64 v[12:13], v[170:171], v[12:13]
	v_accvgpr_read_b32 v15, a81
	v_add_f64 v[12:13], v[12:13], v[14:15]
	v_accvgpr_read_b32 v14, a74
	v_accvgpr_read_b32 v15, a75
	v_add_f64 v[12:13], v[12:13], v[14:15]
	v_accvgpr_read_b32 v14, a72
	v_accvgpr_read_b32 v15, a73
	v_add_f64 v[12:13], v[12:13], v[14:15]
	v_accvgpr_read_b32 v14, a78
	v_accvgpr_read_b32 v15, a79
	v_add_f64 v[12:13], v[12:13], v[14:15]
	v_accvgpr_read_b32 v14, a82
	v_accvgpr_read_b32 v15, a83
	v_add_f64 v[12:13], v[12:13], v[14:15]
	v_accvgpr_read_b32 v14, a70
	v_accvgpr_read_b32 v15, a71
	v_add_f64 v[12:13], v[12:13], v[14:15]
	v_accvgpr_read_b32 v14, a84
	v_accvgpr_read_b32 v15, a85
	v_add_f64 v[12:13], v[12:13], v[14:15]
	v_accvgpr_read_b32 v14, a86
	v_accvgpr_read_b32 v15, a87
	v_add_f64 v[12:13], v[12:13], v[14:15]
	v_accvgpr_read_b32 v14, a62
	v_accvgpr_read_b32 v15, a63
	v_add_f64 v[12:13], v[12:13], v[14:15]
	v_accvgpr_read_b32 v14, a64
	v_accvgpr_read_b32 v15, a65
	v_add_f64 v[12:13], v[12:13], v[14:15]
	v_add_f64 v[14:15], v[12:13], v[68:69]
	;; [unrolled: 1-line block ×17, first 2 shown]
	v_accvgpr_read_b32 v16, a3
	v_accvgpr_read_b32 v17, a37
	;; [unrolled: 1-line block ×6, first 2 shown]
	v_add_f64 v[10:11], v[8:9], v[10:11]
	v_fma_f64 v[8:9], v[236:237], s[20:21], -v[22:23]
	v_add_f64 v[26:27], v[26:27], v[28:29]
	v_fmac_f64_e32 v[22:23], s[20:21], v[236:237]
	v_add_f64 v[12:13], v[12:13], v[72:73]
	v_add_lshl_u32 v16, v17, v16, 4
	v_add_f64 v[8:9], v[8:9], v[26:27]
	v_add_f64 v[0:1], v[22:23], v[0:1]
	ds_write_b128 v16, v[12:15]
	ds_write_b128 v16, v[0:3] offset:48
	ds_write_b128 v16, v[4:7] offset:96
	;; [unrolled: 1-line block ×12, first 2 shown]
.LBB0_25:
	s_or_b64 exec, exec, s[26:27]
	s_waitcnt lgkmcnt(0)
	s_barrier
	ds_read_b128 v[56:59], v216
	ds_read_b128 v[52:55], v216 offset:1872
	ds_read_b128 v[72:75], v216 offset:13728
	;; [unrolled: 1-line block ×8, first 2 shown]
	s_and_saveexec_b64 s[0:1], s[4:5]
	s_cbranch_execz .LBB0_27
; %bb.26:
	ds_read_b128 v[36:39], v216 offset:5616
	ds_read_b128 v[44:47], v216 offset:12480
	;; [unrolled: 1-line block ×3, first 2 shown]
.LBB0_27:
	s_or_b64 exec, exec, s[0:1]
	s_waitcnt lgkmcnt(4)
	v_mul_f64 v[0:1], v[98:99], v[80:81]
	v_fma_f64 v[8:9], v[96:97], v[82:83], -v[0:1]
	v_mul_f64 v[0:1], v[94:95], v[72:73]
	v_fma_f64 v[12:13], v[92:93], v[74:75], -v[0:1]
	s_waitcnt lgkmcnt(2)
	v_mul_f64 v[0:1], v[114:115], v[76:77]
	v_mul_f64 v[6:7], v[98:99], v[82:83]
	;; [unrolled: 1-line block ×3, first 2 shown]
	v_fma_f64 v[16:17], v[112:113], v[78:79], -v[0:1]
	v_mul_f64 v[0:1], v[110:111], v[68:69]
	v_fmac_f64_e32 v[6:7], v[96:97], v[80:81]
	v_fmac_f64_e32 v[10:11], v[92:93], v[72:73]
	v_fma_f64 v[20:21], v[108:109], v[70:71], -v[0:1]
	s_waitcnt lgkmcnt(1)
	v_mul_f64 v[0:1], v[106:107], v[64:65]
	v_fma_f64 v[24:25], v[104:105], v[66:67], -v[0:1]
	s_waitcnt lgkmcnt(0)
	v_mul_f64 v[0:1], v[102:103], v[60:61]
	v_add_f64 v[2:3], v[6:7], v[10:11]
	s_mov_b32 s0, 0xe8584caa
	v_mul_f64 v[14:15], v[114:115], v[78:79]
	v_mul_f64 v[18:19], v[110:111], v[70:71]
	v_fma_f64 v[28:29], v[100:101], v[62:63], -v[0:1]
	v_add_f64 v[0:1], v[56:57], v[6:7]
	v_fmac_f64_e32 v[56:57], -0.5, v[2:3]
	v_add_f64 v[2:3], v[8:9], -v[12:13]
	s_mov_b32 s1, 0xbfebb67a
	s_mov_b32 s3, 0x3febb67a
	;; [unrolled: 1-line block ×3, first 2 shown]
	v_fmac_f64_e32 v[14:15], v[112:113], v[76:77]
	v_fmac_f64_e32 v[18:19], v[108:109], v[68:69]
	v_fma_f64 v[4:5], s[0:1], v[2:3], v[56:57]
	v_fmac_f64_e32 v[56:57], s[2:3], v[2:3]
	v_add_f64 v[2:3], v[58:59], v[8:9]
	v_add_f64 v[8:9], v[8:9], v[12:13]
	;; [unrolled: 1-line block ×3, first 2 shown]
	v_fmac_f64_e32 v[58:59], -0.5, v[8:9]
	v_add_f64 v[8:9], v[6:7], -v[10:11]
	v_add_f64 v[10:11], v[14:15], v[18:19]
	v_mul_f64 v[22:23], v[106:107], v[66:67]
	v_mul_f64 v[26:27], v[102:103], v[62:63]
	v_fma_f64 v[6:7], s[2:3], v[8:9], v[58:59]
	v_fmac_f64_e32 v[58:59], s[0:1], v[8:9]
	v_add_f64 v[8:9], v[52:53], v[14:15]
	v_fmac_f64_e32 v[52:53], -0.5, v[10:11]
	v_add_f64 v[10:11], v[16:17], -v[20:21]
	v_fmac_f64_e32 v[22:23], v[104:105], v[64:65]
	v_fmac_f64_e32 v[26:27], v[100:101], v[60:61]
	v_add_f64 v[2:3], v[2:3], v[12:13]
	v_fma_f64 v[12:13], s[0:1], v[10:11], v[52:53]
	v_fmac_f64_e32 v[52:53], s[2:3], v[10:11]
	v_add_f64 v[10:11], v[54:55], v[16:17]
	v_add_f64 v[16:17], v[16:17], v[20:21]
	v_add_f64 v[8:9], v[8:9], v[18:19]
	v_fmac_f64_e32 v[54:55], -0.5, v[16:17]
	v_add_f64 v[16:17], v[14:15], -v[18:19]
	v_add_f64 v[18:19], v[22:23], v[26:27]
	v_fma_f64 v[14:15], s[2:3], v[16:17], v[54:55]
	v_fmac_f64_e32 v[54:55], s[0:1], v[16:17]
	v_add_f64 v[16:17], v[48:49], v[22:23]
	v_fmac_f64_e32 v[48:49], -0.5, v[18:19]
	v_add_f64 v[18:19], v[24:25], -v[28:29]
	v_add_f64 v[10:11], v[10:11], v[20:21]
	v_fma_f64 v[20:21], s[0:1], v[18:19], v[48:49]
	v_fmac_f64_e32 v[48:49], s[2:3], v[18:19]
	v_add_f64 v[18:19], v[50:51], v[24:25]
	v_add_f64 v[24:25], v[24:25], v[28:29]
	v_fmac_f64_e32 v[50:51], -0.5, v[24:25]
	v_add_f64 v[24:25], v[22:23], -v[26:27]
	s_barrier
	ds_write_b128 v227, v[0:3]
	ds_write_b128 v227, v[4:7] offset:624
	ds_write_b128 v227, v[56:59] offset:1248
	v_accvgpr_read_b32 v0, a54
	v_add_f64 v[16:17], v[16:17], v[26:27]
	v_add_f64 v[18:19], v[18:19], v[28:29]
	v_fma_f64 v[22:23], s[2:3], v[24:25], v[50:51]
	v_fmac_f64_e32 v[50:51], s[0:1], v[24:25]
	ds_write_b128 v0, v[8:11]
	ds_write_b128 v0, v[12:15] offset:624
	ds_write_b128 v0, v[52:55] offset:1248
	ds_write_b128 v217, v[16:19]
	ds_write_b128 v217, v[20:23] offset:624
	ds_write_b128 v217, v[48:51] offset:1248
	s_and_saveexec_b64 s[6:7], s[4:5]
	s_cbranch_execz .LBB0_29
; %bb.28:
	v_accvgpr_read_b32 v10, a50
	v_accvgpr_read_b32 v12, a52
	;; [unrolled: 1-line block ×5, first 2 shown]
	v_mul_f64 v[0:1], v[12:13], v[44:45]
	v_accvgpr_read_b32 v18, a48
	v_accvgpr_read_b32 v19, a49
	v_fma_f64 v[4:5], v[10:11], v[46:47], -v[0:1]
	v_accvgpr_read_b32 v17, a47
	v_mul_f64 v[0:1], v[18:19], v[40:41]
	v_fma_f64 v[8:9], v[16:17], v[42:43], -v[0:1]
	v_mul_f64 v[12:13], v[12:13], v[46:47]
	v_mul_f64 v[14:15], v[18:19], v[42:43]
	v_add_f64 v[0:1], v[4:5], v[8:9]
	v_fmac_f64_e32 v[12:13], v[10:11], v[44:45]
	v_fmac_f64_e32 v[14:15], v[16:17], v[40:41]
	v_fma_f64 v[2:3], -0.5, v[0:1], v[38:39]
	v_add_f64 v[0:1], v[12:13], -v[14:15]
	v_fma_f64 v[6:7], s[0:1], v[0:1], v[2:3]
	v_fmac_f64_e32 v[2:3], s[2:3], v[0:1]
	v_add_f64 v[0:1], v[38:39], v[4:5]
	v_add_f64 v[10:11], v[0:1], v[8:9]
	;; [unrolled: 1-line block ×3, first 2 shown]
	v_fma_f64 v[0:1], -0.5, v[0:1], v[36:37]
	v_add_f64 v[8:9], v[4:5], -v[8:9]
	v_fma_f64 v[4:5], s[2:3], v[8:9], v[0:1]
	v_fmac_f64_e32 v[0:1], s[0:1], v[8:9]
	s_movk_i32 s0, 0x75
	v_add_f64 v[8:9], v[36:37], v[12:13]
	v_mad_legacy_u16 v12, v225, s0, v226
	v_add_f64 v[8:9], v[8:9], v[14:15]
	v_lshlrev_b32_e32 v12, 4, v12
	ds_write_b128 v12, v[8:11]
	ds_write_b128 v12, v[0:3] offset:624
	ds_write_b128 v12, v[4:7] offset:1248
.LBB0_29:
	s_or_b64 exec, exec, s[6:7]
	s_waitcnt lgkmcnt(0)
	s_barrier
	ds_read_b128 v[40:43], v216
	ds_read_b128 v[0:3], v216 offset:1872
	ds_read_b128 v[4:7], v216 offset:3744
	ds_read_b128 v[8:11], v216 offset:5616
	ds_read_b128 v[12:15], v216 offset:7488
	ds_read_b128 v[16:19], v216 offset:9360
	ds_read_b128 v[20:23], v216 offset:11232
	ds_read_b128 v[24:27], v216 offset:13104
	ds_read_b128 v[28:31], v216 offset:14976
	ds_read_b128 v[32:35], v216 offset:16848
	ds_read_b128 v[36:39], v216 offset:18720
	s_waitcnt lgkmcnt(9)
	v_mul_f64 v[50:51], v[130:131], v[2:3]
	v_fmac_f64_e32 v[50:51], v[128:129], v[0:1]
	v_mul_f64 v[0:1], v[130:131], v[0:1]
	v_fma_f64 v[52:53], v[128:129], v[2:3], -v[0:1]
	s_waitcnt lgkmcnt(8)
	v_mul_f64 v[0:1], v[126:127], v[4:5]
	v_fma_f64 v[56:57], v[124:125], v[6:7], -v[0:1]
	s_waitcnt lgkmcnt(7)
	;; [unrolled: 3-line block ×3, first 2 shown]
	v_mul_f64 v[0:1], v[118:119], v[12:13]
	s_waitcnt lgkmcnt(5)
	v_mul_f64 v[2:3], v[150:151], v[16:17]
	v_mul_f64 v[58:59], v[122:123], v[10:11]
	v_fma_f64 v[10:11], v[116:117], v[14:15], -v[0:1]
	v_mul_f64 v[0:1], v[150:151], v[18:19]
	v_fma_f64 v[2:3], v[148:149], v[18:19], -v[2:3]
	s_waitcnt lgkmcnt(2)
	v_mul_f64 v[18:19], v[138:139], v[28:29]
	v_mul_f64 v[54:55], v[126:127], v[6:7]
	v_fmac_f64_e32 v[0:1], v[148:149], v[16:17]
	v_mul_f64 v[16:17], v[138:139], v[30:31]
	v_fma_f64 v[18:19], v[136:137], v[30:31], -v[18:19]
	v_add_f64 v[30:31], v[42:43], v[52:53]
	v_fmac_f64_e32 v[54:55], v[124:125], v[4:5]
	v_fmac_f64_e32 v[16:17], v[136:137], v[28:29]
	v_add_f64 v[28:29], v[40:41], v[50:51]
	v_add_f64 v[30:31], v[30:31], v[56:57]
	v_fmac_f64_e32 v[58:59], v[120:121], v[8:9]
	v_mul_f64 v[8:9], v[118:119], v[14:15]
	v_add_f64 v[28:29], v[28:29], v[54:55]
	v_add_f64 v[30:31], v[30:31], v[60:61]
	v_fmac_f64_e32 v[8:9], v[116:117], v[12:13]
	v_mul_f64 v[6:7], v[146:147], v[20:21]
	v_add_f64 v[28:29], v[28:29], v[58:59]
	v_add_f64 v[30:31], v[30:31], v[10:11]
	v_mul_f64 v[4:5], v[146:147], v[22:23]
	v_fma_f64 v[6:7], v[144:145], v[22:23], -v[6:7]
	v_mul_f64 v[14:15], v[142:143], v[24:25]
	v_add_f64 v[28:29], v[28:29], v[8:9]
	v_add_f64 v[30:31], v[30:31], v[2:3]
	v_fmac_f64_e32 v[4:5], v[144:145], v[20:21]
	v_mul_f64 v[12:13], v[142:143], v[26:27]
	v_fma_f64 v[14:15], v[140:141], v[26:27], -v[14:15]
	v_add_f64 v[28:29], v[28:29], v[0:1]
	v_add_f64 v[30:31], v[30:31], v[6:7]
	v_fmac_f64_e32 v[12:13], v[140:141], v[24:25]
	s_waitcnt lgkmcnt(1)
	v_mul_f64 v[22:23], v[158:159], v[32:33]
	v_add_f64 v[28:29], v[28:29], v[4:5]
	v_add_f64 v[30:31], v[30:31], v[14:15]
	v_accvgpr_read_b32 v90, a36
	v_mul_f64 v[20:21], v[158:159], v[34:35]
	v_fma_f64 v[22:23], v[156:157], v[34:35], -v[22:23]
	s_waitcnt lgkmcnt(0)
	v_mul_f64 v[26:27], v[154:155], v[36:37]
	v_add_f64 v[28:29], v[28:29], v[12:13]
	v_add_f64 v[30:31], v[30:31], v[18:19]
	v_mad_u64_u32 v[46:47], s[0:1], s10, v90, 0
	v_fmac_f64_e32 v[20:21], v[156:157], v[32:33]
	v_mul_f64 v[24:25], v[154:155], v[38:39]
	v_fma_f64 v[26:27], v[152:153], v[38:39], -v[26:27]
	v_add_f64 v[28:29], v[28:29], v[16:17]
	v_add_f64 v[30:31], v[30:31], v[22:23]
	s_mov_b32 s18, 0x8764f0ba
	s_mov_b32 s6, 0xd9c712b6
	;; [unrolled: 1-line block ×5, first 2 shown]
	v_fmac_f64_e32 v[24:25], v[152:153], v[36:37]
	v_add_f64 v[28:29], v[28:29], v[20:21]
	v_add_f64 v[38:39], v[30:31], v[26:27]
	;; [unrolled: 1-line block ×3, first 2 shown]
	s_mov_b32 s16, 0xf8bb580b
	s_mov_b32 s19, 0x3feaeb8c
	s_mov_b32 s2, 0x8eee2c13
	s_mov_b32 s7, 0x3fda9628
	s_mov_b32 s0, 0x43842ef
	s_mov_b32 s15, 0xbfc2375f
	s_mov_b32 s24, 0xbb3a28a1
	s_mov_b32 s27, 0xbfe4f49e
	s_mov_b32 s30, 0xfd768dbf
	s_mov_b32 s35, 0xbfeeb42a
	v_add_f64 v[36:37], v[28:29], v[24:25]
	v_add_f64 v[28:29], v[50:51], v[24:25]
	v_add_f64 v[24:25], v[50:51], -v[24:25]
	v_add_f64 v[26:27], v[52:53], -v[26:27]
	s_mov_b32 s17, 0xbfe14ced
	v_mul_f64 v[50:51], v[30:31], s[18:19]
	s_mov_b32 s3, 0xbfed1bb4
	v_mul_f64 v[66:67], v[30:31], s[6:7]
	;; [unrolled: 2-line block ×5, first 2 shown]
	s_mov_b32 s37, 0x3fd207e7
	s_mov_b32 s36, s30
	v_mov_b32_e32 v44, s12
	v_mov_b32_e32 v45, s13
	v_mul_f64 v[32:33], v[26:27], s[16:17]
	s_mov_b32 s21, 0x3fe14ced
	s_mov_b32 s20, s16
	v_mul_f64 v[62:63], v[26:27], s[2:3]
	s_mov_b32 s13, 0x3fed1bb4
	s_mov_b32 s12, s2
	;; [unrolled: 3-line block ×4, first 2 shown]
	v_mul_f64 v[26:27], v[26:27], s[30:31]
	v_fma_f64 v[88:89], s[36:37], v[24:25], v[30:31]
	v_fmac_f64_e32 v[30:31], s[30:31], v[24:25]
	v_fma_f64 v[34:35], s[18:19], v[28:29], v[32:33]
	v_fma_f64 v[52:53], s[20:21], v[24:25], v[50:51]
	v_fma_f64 v[32:33], v[28:29], s[18:19], -v[32:33]
	v_fmac_f64_e32 v[50:51], s[16:17], v[24:25]
	v_fma_f64 v[64:65], s[6:7], v[28:29], v[62:63]
	v_fma_f64 v[68:69], s[12:13], v[24:25], v[66:67]
	v_fma_f64 v[62:63], v[28:29], s[6:7], -v[62:63]
	;; [unrolled: 4-line block ×4, first 2 shown]
	v_fmac_f64_e32 v[82:83], s[24:25], v[24:25]
	v_fma_f64 v[86:87], s[34:35], v[28:29], v[26:27]
	v_fma_f64 v[26:27], v[28:29], s[34:35], -v[26:27]
	v_add_f64 v[24:25], v[42:43], v[30:31]
	v_add_f64 v[30:31], v[56:57], v[22:23]
	v_add_f64 v[22:23], v[56:57], -v[22:23]
	v_add_f64 v[34:35], v[40:41], v[34:35]
	v_add_f64 v[32:33], v[40:41], v[32:33]
	;; [unrolled: 1-line block ×11, first 2 shown]
	v_mul_f64 v[40:41], v[22:23], s[2:3]
	v_add_f64 v[52:53], v[42:43], v[52:53]
	v_add_f64 v[50:51], v[42:43], v[50:51]
	v_add_f64 v[68:69], v[42:43], v[68:69]
	v_add_f64 v[66:67], v[42:43], v[66:67]
	v_add_f64 v[76:77], v[42:43], v[76:77]
	v_add_f64 v[74:75], v[42:43], v[74:75]
	v_add_f64 v[84:85], v[42:43], v[84:85]
	v_add_f64 v[82:83], v[42:43], v[82:83]
	v_add_f64 v[88:89], v[42:43], v[88:89]
	v_fma_f64 v[42:43], s[6:7], v[28:29], v[40:41]
	v_add_f64 v[20:21], v[54:55], -v[20:21]
	v_add_f64 v[34:35], v[42:43], v[34:35]
	v_mul_f64 v[42:43], v[30:31], s[6:7]
	v_fma_f64 v[54:55], s[12:13], v[20:21], v[42:43]
	v_fma_f64 v[40:41], v[28:29], s[6:7], -v[40:41]
	v_fmac_f64_e32 v[42:43], s[2:3], v[20:21]
	v_add_f64 v[32:33], v[40:41], v[32:33]
	v_add_f64 v[40:41], v[42:43], v[50:51]
	v_mul_f64 v[42:43], v[22:23], s[24:25]
	v_fma_f64 v[50:51], s[26:27], v[28:29], v[42:43]
	v_fma_f64 v[42:43], v[28:29], s[26:27], -v[42:43]
	v_add_f64 v[52:53], v[54:55], v[52:53]
	v_mul_f64 v[54:55], v[30:31], s[26:27]
	v_add_f64 v[42:43], v[42:43], v[62:63]
	v_mul_f64 v[62:63], v[22:23], s[36:37]
	v_add_f64 v[50:51], v[50:51], v[64:65]
	v_fma_f64 v[56:57], s[28:29], v[20:21], v[54:55]
	v_fmac_f64_e32 v[54:55], s[24:25], v[20:21]
	v_fma_f64 v[64:65], s[34:35], v[28:29], v[62:63]
	v_fma_f64 v[62:63], v[28:29], s[34:35], -v[62:63]
	v_add_f64 v[54:55], v[54:55], v[66:67]
	v_mul_f64 v[66:67], v[30:31], s[34:35]
	v_add_f64 v[62:63], v[62:63], v[70:71]
	v_mul_f64 v[70:71], v[22:23], s[22:23]
	v_add_f64 v[56:57], v[56:57], v[68:69]
	v_add_f64 v[64:65], v[64:65], v[72:73]
	v_fma_f64 v[68:69], s[30:31], v[20:21], v[66:67]
	v_fmac_f64_e32 v[66:67], s[36:37], v[20:21]
	v_fma_f64 v[72:73], s[14:15], v[28:29], v[70:71]
	v_fma_f64 v[70:71], v[28:29], s[14:15], -v[70:71]
	v_mul_f64 v[22:23], v[22:23], s[20:21]
	v_add_f64 v[66:67], v[66:67], v[74:75]
	v_mul_f64 v[74:75], v[30:31], s[14:15]
	v_add_f64 v[70:71], v[70:71], v[78:79]
	v_fma_f64 v[78:79], s[18:19], v[28:29], v[22:23]
	v_mul_f64 v[30:31], v[30:31], s[18:19]
	v_fma_f64 v[22:23], v[28:29], s[18:19], -v[22:23]
	v_add_f64 v[72:73], v[72:73], v[80:81]
	v_fma_f64 v[80:81], s[16:17], v[20:21], v[30:31]
	v_add_f64 v[22:23], v[22:23], v[26:27]
	v_fmac_f64_e32 v[30:31], s[20:21], v[20:21]
	v_add_f64 v[26:27], v[60:61], v[18:19]
	v_add_f64 v[18:19], v[60:61], -v[18:19]
	v_add_f64 v[68:69], v[68:69], v[76:77]
	v_fma_f64 v[76:77], s[0:1], v[20:21], v[74:75]
	v_fmac_f64_e32 v[74:75], s[22:23], v[20:21]
	v_add_f64 v[20:21], v[30:31], v[24:25]
	v_add_f64 v[24:25], v[58:59], v[16:17]
	v_mul_f64 v[28:29], v[18:19], s[0:1]
	v_fma_f64 v[30:31], s[14:15], v[24:25], v[28:29]
	v_add_f64 v[16:17], v[58:59], -v[16:17]
	v_add_f64 v[30:31], v[30:31], v[34:35]
	v_mul_f64 v[34:35], v[26:27], s[14:15]
	v_fma_f64 v[58:59], s[22:23], v[16:17], v[34:35]
	v_fma_f64 v[28:29], v[24:25], s[14:15], -v[28:29]
	v_fmac_f64_e32 v[34:35], s[0:1], v[16:17]
	v_add_f64 v[28:29], v[28:29], v[32:33]
	v_add_f64 v[32:33], v[34:35], v[40:41]
	v_mul_f64 v[34:35], v[18:19], s[36:37]
	v_fma_f64 v[40:41], s[34:35], v[24:25], v[34:35]
	v_add_f64 v[40:41], v[40:41], v[50:51]
	v_mul_f64 v[50:51], v[26:27], s[34:35]
	v_add_f64 v[52:53], v[58:59], v[52:53]
	v_fma_f64 v[58:59], s[30:31], v[16:17], v[50:51]
	v_fma_f64 v[34:35], v[24:25], s[34:35], -v[34:35]
	v_fmac_f64_e32 v[50:51], s[36:37], v[16:17]
	v_add_f64 v[34:35], v[34:35], v[42:43]
	v_add_f64 v[42:43], v[50:51], v[54:55]
	v_mul_f64 v[50:51], v[18:19], s[12:13]
	v_fma_f64 v[54:55], s[6:7], v[24:25], v[50:51]
	v_fma_f64 v[50:51], v[24:25], s[6:7], -v[50:51]
	v_add_f64 v[56:57], v[58:59], v[56:57]
	v_mul_f64 v[58:59], v[26:27], s[6:7]
	v_add_f64 v[50:51], v[50:51], v[62:63]
	v_mul_f64 v[62:63], v[18:19], s[16:17]
	v_add_f64 v[54:55], v[54:55], v[64:65]
	v_fma_f64 v[60:61], s[2:3], v[16:17], v[58:59]
	v_fmac_f64_e32 v[58:59], s[12:13], v[16:17]
	v_fma_f64 v[64:65], s[18:19], v[24:25], v[62:63]
	v_fma_f64 v[62:63], v[24:25], s[18:19], -v[62:63]
	v_mul_f64 v[18:19], v[18:19], s[24:25]
	v_add_f64 v[58:59], v[58:59], v[66:67]
	v_mul_f64 v[66:67], v[26:27], s[18:19]
	v_add_f64 v[62:63], v[62:63], v[70:71]
	v_fma_f64 v[70:71], s[26:27], v[24:25], v[18:19]
	v_mul_f64 v[26:27], v[26:27], s[26:27]
	v_fma_f64 v[18:19], v[24:25], s[26:27], -v[18:19]
	v_add_f64 v[64:65], v[64:65], v[72:73]
	v_fma_f64 v[72:73], s[28:29], v[16:17], v[26:27]
	v_add_f64 v[18:19], v[18:19], v[22:23]
	v_fmac_f64_e32 v[26:27], s[24:25], v[16:17]
	v_add_f64 v[22:23], v[10:11], v[14:15]
	v_add_f64 v[10:11], v[10:11], -v[14:15]
	v_add_f64 v[60:61], v[60:61], v[68:69]
	v_fma_f64 v[68:69], s[20:21], v[16:17], v[66:67]
	v_fmac_f64_e32 v[66:67], s[16:17], v[16:17]
	v_add_f64 v[16:17], v[26:27], v[20:21]
	v_add_f64 v[20:21], v[8:9], v[12:13]
	v_add_f64 v[8:9], v[8:9], -v[12:13]
	v_mul_f64 v[12:13], v[10:11], s[24:25]
	v_fma_f64 v[14:15], s[26:27], v[20:21], v[12:13]
	v_mul_f64 v[24:25], v[22:23], s[26:27]
	v_fma_f64 v[12:13], v[20:21], s[26:27], -v[12:13]
	v_fma_f64 v[26:27], s[28:29], v[8:9], v[24:25]
	v_add_f64 v[12:13], v[12:13], v[28:29]
	v_fmac_f64_e32 v[24:25], s[24:25], v[8:9]
	v_mul_f64 v[28:29], v[10:11], s[22:23]
	v_add_f64 v[14:15], v[14:15], v[30:31]
	v_add_f64 v[24:25], v[24:25], v[32:33]
	v_fma_f64 v[30:31], s[14:15], v[20:21], v[28:29]
	v_mul_f64 v[32:33], v[22:23], s[14:15]
	v_fma_f64 v[28:29], v[20:21], s[14:15], -v[28:29]
	v_add_f64 v[30:31], v[30:31], v[40:41]
	v_fma_f64 v[40:41], s[0:1], v[8:9], v[32:33]
	v_add_f64 v[28:29], v[28:29], v[34:35]
	v_fmac_f64_e32 v[32:33], s[22:23], v[8:9]
	v_mul_f64 v[34:35], v[10:11], s[16:17]
	v_add_f64 v[26:27], v[26:27], v[52:53]
	v_add_f64 v[32:33], v[32:33], v[42:43]
	v_fma_f64 v[42:43], s[18:19], v[20:21], v[34:35]
	v_mul_f64 v[52:53], v[22:23], s[18:19]
	v_add_f64 v[42:43], v[42:43], v[54:55]
	v_fma_f64 v[54:55], s[20:21], v[8:9], v[52:53]
	v_fma_f64 v[34:35], v[20:21], s[18:19], -v[34:35]
	v_fmac_f64_e32 v[52:53], s[16:17], v[8:9]
	v_add_f64 v[34:35], v[34:35], v[50:51]
	v_add_f64 v[50:51], v[52:53], v[58:59]
	v_mul_f64 v[52:53], v[10:11], s[30:31]
	v_add_f64 v[76:77], v[76:77], v[84:85]
	v_add_f64 v[78:79], v[78:79], v[86:87]
	;; [unrolled: 1-line block ×3, first 2 shown]
	v_fma_f64 v[56:57], s[34:35], v[20:21], v[52:53]
	v_fma_f64 v[52:53], v[20:21], s[34:35], -v[52:53]
	v_mul_f64 v[10:11], v[10:11], s[12:13]
	v_add_f64 v[74:75], v[74:75], v[82:83]
	v_add_f64 v[80:81], v[80:81], v[88:89]
	;; [unrolled: 1-line block ×4, first 2 shown]
	v_mul_f64 v[58:59], v[22:23], s[34:35]
	v_add_f64 v[52:53], v[52:53], v[62:63]
	v_fma_f64 v[62:63], s[6:7], v[20:21], v[10:11]
	v_mul_f64 v[22:23], v[22:23], s[6:7]
	v_add_f64 v[76:77], v[2:3], -v[6:7]
	v_add_f64 v[66:67], v[66:67], v[74:75]
	v_add_f64 v[72:73], v[72:73], v[80:81]
	v_add_f64 v[56:57], v[56:57], v[64:65]
	v_add_f64 v[62:63], v[62:63], v[70:71]
	v_fma_f64 v[64:65], s[2:3], v[8:9], v[22:23]
	v_add_f64 v[70:71], v[0:1], v[4:5]
	v_add_f64 v[74:75], v[0:1], -v[4:5]
	v_mul_f64 v[4:5], v[76:77], s[30:31]
	v_add_f64 v[64:65], v[64:65], v[72:73]
	v_add_f64 v[72:73], v[2:3], v[6:7]
	v_fma_f64 v[0:1], s[34:35], v[70:71], v[4:5]
	v_fma_f64 v[4:5], v[70:71], s[34:35], -v[4:5]
	v_add_f64 v[54:55], v[54:55], v[60:61]
	v_fma_f64 v[60:61], s[36:37], v[8:9], v[58:59]
	v_fmac_f64_e32 v[58:59], s[30:31], v[8:9]
	v_fma_f64 v[10:11], v[20:21], s[6:7], -v[10:11]
	v_fmac_f64_e32 v[22:23], s[12:13], v[8:9]
	v_add_f64 v[0:1], v[0:1], v[14:15]
	v_add_f64 v[4:5], v[4:5], v[12:13]
	v_mul_f64 v[12:13], v[76:77], s[20:21]
	v_mul_f64 v[14:15], v[72:73], s[18:19]
	;; [unrolled: 1-line block ×3, first 2 shown]
	v_add_f64 v[60:61], v[60:61], v[68:69]
	v_add_f64 v[58:59], v[58:59], v[66:67]
	;; [unrolled: 1-line block ×4, first 2 shown]
	v_mul_f64 v[6:7], v[72:73], s[34:35]
	v_fma_f64 v[8:9], s[18:19], v[70:71], v[12:13]
	v_fma_f64 v[10:11], s[16:17], v[74:75], v[14:15]
	v_fma_f64 v[12:13], v[70:71], s[18:19], -v[12:13]
	v_fma_f64 v[16:17], s[26:27], v[70:71], v[20:21]
	v_fma_f64 v[2:3], s[36:37], v[74:75], v[6:7]
	v_fmac_f64_e32 v[6:7], s[30:31], v[74:75]
	v_add_f64 v[8:9], v[8:9], v[30:31]
	v_add_f64 v[10:11], v[10:11], v[40:41]
	;; [unrolled: 1-line block ×3, first 2 shown]
	v_fmac_f64_e32 v[14:15], s[20:21], v[74:75]
	v_add_f64 v[16:17], v[16:17], v[42:43]
	v_mul_f64 v[22:23], v[72:73], s[26:27]
	v_fma_f64 v[20:21], v[70:71], s[26:27], -v[20:21]
	v_mul_f64 v[28:29], v[76:77], s[12:13]
	v_mul_f64 v[30:31], v[72:73], s[6:7]
	;; [unrolled: 1-line block ×4, first 2 shown]
	v_add_f64 v[2:3], v[2:3], v[26:27]
	v_add_f64 v[6:7], v[6:7], v[24:25]
	;; [unrolled: 1-line block ×3, first 2 shown]
	v_fma_f64 v[18:19], s[28:29], v[74:75], v[22:23]
	v_add_f64 v[20:21], v[20:21], v[34:35]
	v_fmac_f64_e32 v[22:23], s[24:25], v[74:75]
	v_fma_f64 v[24:25], s[6:7], v[70:71], v[28:29]
	v_fma_f64 v[26:27], s[2:3], v[74:75], v[30:31]
	v_fma_f64 v[28:29], v[70:71], s[6:7], -v[28:29]
	v_fmac_f64_e32 v[30:31], s[12:13], v[74:75]
	v_fma_f64 v[32:33], s[14:15], v[70:71], v[40:41]
	v_fma_f64 v[34:35], s[22:23], v[74:75], v[42:43]
	v_fma_f64 v[40:41], v[70:71], s[14:15], -v[40:41]
	v_fmac_f64_e32 v[42:43], s[0:1], v[74:75]
	v_add_f64 v[18:19], v[18:19], v[54:55]
	v_add_f64 v[22:23], v[22:23], v[50:51]
	;; [unrolled: 1-line block ×10, first 2 shown]
	ds_write_b128 v216, v[36:39]
	ds_write_b128 v216, v[0:3] offset:1872
	ds_write_b128 v216, v[8:11] offset:3744
	;; [unrolled: 1-line block ×10, first 2 shown]
	s_waitcnt lgkmcnt(0)
	s_barrier
	ds_read_b128 v[0:3], v216
	v_mov_b32_e32 v48, v47
	v_accvgpr_read_b32 v10, a12
	v_mad_u64_u32 v[4:5], s[0:1], s11, v90, v[48:49]
	v_accvgpr_read_b32 v12, a14
	v_accvgpr_read_b32 v13, a15
	v_mov_b32_e32 v47, v4
	ds_read_b128 v[4:7], v216 offset:1872
	v_accvgpr_read_b32 v11, a13
	s_waitcnt lgkmcnt(1)
	v_mul_f64 v[8:9], v[12:13], v[2:3]
	v_fmac_f64_e32 v[8:9], v[10:11], v[0:1]
	s_mov_b32 s0, 0x768d3a48
	v_mul_f64 v[0:1], v[12:13], v[0:1]
	s_mov_b32 s1, 0x3f4975f4
	v_fma_f64 v[0:1], v[10:11], v[2:3], -v[0:1]
	v_mad_u64_u32 v[12:13], s[2:3], s8, v224, 0
	v_mul_f64 v[10:11], v[0:1], s[0:1]
	v_mov_b32_e32 v0, v13
	v_mad_u64_u32 v[0:1], s[2:3], s9, v224, v[0:1]
	v_mov_b32_e32 v13, v0
	ds_read_b128 v[0:3], v216 offset:6864
	v_lshl_add_u64 v[14:15], v[46:47], 4, v[44:45]
	v_accvgpr_read_b32 v21, a7
	v_mul_f64 v[8:9], v[8:9], s[0:1]
	v_lshl_add_u64 v[16:17], v[12:13], 4, v[14:15]
	v_accvgpr_read_b32 v20, a6
	global_store_dwordx4 v[16:17], v[8:11], off
	ds_read_b128 v[8:11], v216 offset:3744
	v_accvgpr_read_b32 v19, a5
	v_accvgpr_read_b32 v18, a4
	s_waitcnt lgkmcnt(1)
	v_mul_f64 v[12:13], v[20:21], v[2:3]
	v_fmac_f64_e32 v[12:13], v[18:19], v[0:1]
	v_mul_f64 v[0:1], v[20:21], v[0:1]
	v_fma_f64 v[0:1], v[18:19], v[2:3], -v[0:1]
	v_mul_f64 v[14:15], v[0:1], s[0:1]
	ds_read_b128 v[0:3], v216 offset:13728
	s_mul_i32 s2, s9, 0x1ad
	s_mul_hi_u32 s3, s8, 0x1ad
	s_add_i32 s3, s3, s2
	s_mul_i32 s2, s8, 0x1ad
	s_lshl_b64 s[2:3], s[2:3], 4
	v_accvgpr_read_b32 v25, a11
	v_mul_f64 v[12:13], v[12:13], s[0:1]
	v_lshl_add_u64 v[20:21], v[16:17], 0, s[2:3]
	v_accvgpr_read_b32 v24, a10
	global_store_dwordx4 v[20:21], v[12:15], off
	ds_read_b128 v[12:15], v216 offset:15600
	v_accvgpr_read_b32 v23, a9
	v_accvgpr_read_b32 v22, a8
	s_waitcnt lgkmcnt(1)
	v_mul_f64 v[16:17], v[24:25], v[2:3]
	v_fmac_f64_e32 v[16:17], v[22:23], v[0:1]
	v_mul_f64 v[0:1], v[24:25], v[0:1]
	v_fma_f64 v[0:1], v[22:23], v[2:3], -v[0:1]
	v_mul_f64 v[16:17], v[16:17], s[0:1]
	v_mul_f64 v[18:19], v[0:1], s[0:1]
	v_lshl_add_u64 v[20:21], v[20:21], 0, s[2:3]
	global_store_dwordx4 v[20:21], v[16:19], off
	s_mul_hi_u32 s7, s8, 0xfffffd1b
	s_mul_i32 s6, s9, 0xfffffd1b
	v_accvgpr_read_b32 v16, a20
	v_accvgpr_read_b32 v18, a22
	;; [unrolled: 1-line block ×4, first 2 shown]
	v_mul_f64 v[0:1], v[18:19], v[6:7]
	v_mul_f64 v[2:3], v[18:19], v[4:5]
	v_fmac_f64_e32 v[0:1], v[16:17], v[4:5]
	v_fma_f64 v[2:3], v[16:17], v[6:7], -v[2:3]
	ds_read_b128 v[4:7], v216 offset:8736
	s_sub_i32 s7, s7, s8
	s_add_i32 s7, s7, s6
	s_mul_i32 s6, s8, 0xfffffd1b
	s_lshl_b64 s[8:9], s[6:7], 4
	v_accvgpr_read_b32 v25, a19
	v_mul_f64 v[0:1], v[0:1], s[0:1]
	v_mul_f64 v[2:3], v[2:3], s[0:1]
	v_lshl_add_u64 v[20:21], v[20:21], 0, s[8:9]
	v_accvgpr_read_b32 v24, a18
	global_store_dwordx4 v[20:21], v[0:3], off
	ds_read_b128 v[0:3], v216 offset:10608
	v_accvgpr_read_b32 v23, a17
	v_accvgpr_read_b32 v22, a16
	s_waitcnt lgkmcnt(1)
	v_mul_f64 v[16:17], v[24:25], v[6:7]
	v_fmac_f64_e32 v[16:17], v[22:23], v[4:5]
	v_mul_f64 v[4:5], v[24:25], v[4:5]
	v_fma_f64 v[4:5], v[22:23], v[6:7], -v[4:5]
	v_mul_f64 v[16:17], v[16:17], s[0:1]
	v_mul_f64 v[18:19], v[4:5], s[0:1]
	v_lshl_add_u64 v[20:21], v[20:21], 0, s[2:3]
	global_store_dwordx4 v[20:21], v[16:19], off
	s_nop 1
	v_accvgpr_read_b32 v16, a24
	v_accvgpr_read_b32 v18, a26
	;; [unrolled: 1-line block ×4, first 2 shown]
	v_mul_f64 v[4:5], v[18:19], v[14:15]
	v_mul_f64 v[6:7], v[18:19], v[12:13]
	v_fmac_f64_e32 v[4:5], v[16:17], v[12:13]
	v_fma_f64 v[6:7], v[16:17], v[14:15], -v[6:7]
	v_accvgpr_read_b32 v14, a28
	v_mul_f64 v[4:5], v[4:5], s[0:1]
	v_mul_f64 v[6:7], v[6:7], s[0:1]
	v_lshl_add_u64 v[12:13], v[20:21], 0, s[2:3]
	v_accvgpr_read_b32 v16, a30
	v_accvgpr_read_b32 v17, a31
	global_store_dwordx4 v[12:13], v[4:7], off
	v_accvgpr_read_b32 v15, a29
	v_lshl_add_u64 v[12:13], v[12:13], 0, s[8:9]
	v_mul_f64 v[4:5], v[16:17], v[10:11]
	v_mul_f64 v[6:7], v[16:17], v[8:9]
	v_fmac_f64_e32 v[4:5], v[14:15], v[8:9]
	v_fma_f64 v[6:7], v[14:15], v[10:11], -v[6:7]
	v_mul_f64 v[4:5], v[4:5], s[0:1]
	v_mul_f64 v[6:7], v[6:7], s[0:1]
	global_store_dwordx4 v[12:13], v[4:7], off
	s_nop 1
	v_accvgpr_read_b32 v6, a32
	v_accvgpr_read_b32 v8, a34
	;; [unrolled: 1-line block ×4, first 2 shown]
	s_waitcnt lgkmcnt(0)
	v_mul_f64 v[4:5], v[8:9], v[2:3]
	v_fmac_f64_e32 v[4:5], v[6:7], v[0:1]
	v_mul_f64 v[0:1], v[8:9], v[0:1]
	ds_read_b128 v[8:11], v216 offset:17472
	v_fma_f64 v[0:1], v[6:7], v[2:3], -v[0:1]
	v_mul_f64 v[6:7], v[0:1], s[0:1]
	v_lshl_add_u64 v[0:1], v[12:13], 0, s[2:3]
	v_accvgpr_read_b32 v12, a38
	v_mul_f64 v[4:5], v[4:5], s[0:1]
	v_accvgpr_read_b32 v14, a40
	v_accvgpr_read_b32 v15, a41
	global_store_dwordx4 v[0:1], v[4:7], off
	v_accvgpr_read_b32 v13, a39
	s_waitcnt lgkmcnt(0)
	v_mul_f64 v[2:3], v[14:15], v[10:11]
	v_mul_f64 v[4:5], v[14:15], v[8:9]
	v_fmac_f64_e32 v[2:3], v[12:13], v[8:9]
	v_fma_f64 v[4:5], v[12:13], v[10:11], -v[4:5]
	v_mul_f64 v[2:3], v[2:3], s[0:1]
	v_mul_f64 v[4:5], v[4:5], s[0:1]
	v_lshl_add_u64 v[0:1], v[0:1], 0, s[2:3]
	global_store_dwordx4 v[0:1], v[2:5], off
	s_and_b64 exec, exec, s[4:5]
	s_cbranch_execz .LBB0_31
; %bb.30:
	v_accvgpr_read_b32 v15, a1
	v_accvgpr_read_b32 v14, a0
	v_add_co_u32_e32 v10, vcc, 0x1000, v14
	s_movk_i32 s4, 0x3000
	s_nop 0
	v_addc_co_u32_e32 v11, vcc, 0, v15, vcc
	v_add_co_u32_e32 v12, vcc, s4, v14
	s_movk_i32 s4, 0x4000
	s_nop 0
	v_addc_co_u32_e32 v13, vcc, 0, v15, vcc
	global_load_dwordx4 v[2:5], v[10:11], off offset:1520
	global_load_dwordx4 v[6:9], v[12:13], off offset:192
	v_add_co_u32_e32 v10, vcc, s4, v14
	v_lshl_add_u64 v[26:27], s[6:7], 4, v[0:1]
	s_nop 0
	v_addc_co_u32_e32 v11, vcc, 0, v15, vcc
	global_load_dwordx4 v[10:13], v[10:11], off offset:2960
	ds_read_b128 v[14:17], v216 offset:5616
	ds_read_b128 v[18:21], v216 offset:12480
	;; [unrolled: 1-line block ×3, first 2 shown]
	v_lshl_add_u64 v[28:29], v[26:27], 0, s[2:3]
	v_lshl_add_u64 v[30:31], v[28:29], 0, s[2:3]
	s_waitcnt vmcnt(2) lgkmcnt(2)
	v_mul_f64 v[0:1], v[16:17], v[4:5]
	v_mul_f64 v[4:5], v[14:15], v[4:5]
	s_waitcnt vmcnt(1) lgkmcnt(1)
	v_mul_f64 v[32:33], v[20:21], v[8:9]
	v_mul_f64 v[8:9], v[18:19], v[8:9]
	v_fmac_f64_e32 v[0:1], v[14:15], v[2:3]
	v_fma_f64 v[2:3], v[2:3], v[16:17], -v[4:5]
	v_fmac_f64_e32 v[32:33], v[18:19], v[6:7]
	s_waitcnt vmcnt(0) lgkmcnt(0)
	v_mul_f64 v[34:35], v[24:25], v[12:13]
	v_mul_f64 v[12:13], v[22:23], v[12:13]
	v_fma_f64 v[6:7], v[6:7], v[20:21], -v[8:9]
	v_fmac_f64_e32 v[34:35], v[22:23], v[10:11]
	v_fma_f64 v[10:11], v[10:11], v[24:25], -v[12:13]
	v_mul_f64 v[0:1], v[0:1], s[0:1]
	v_mul_f64 v[2:3], v[2:3], s[0:1]
	;; [unrolled: 1-line block ×6, first 2 shown]
	global_store_dwordx4 v[26:27], v[0:3], off
	global_store_dwordx4 v[28:29], v[4:7], off
	;; [unrolled: 1-line block ×3, first 2 shown]
.LBB0_31:
	s_endpgm
	.section	.rodata,"a",@progbits
	.p2align	6, 0x0
	.amdhsa_kernel bluestein_single_back_len1287_dim1_dp_op_CI_CI
		.amdhsa_group_segment_fixed_size 20592
		.amdhsa_private_segment_fixed_size 0
		.amdhsa_kernarg_size 104
		.amdhsa_user_sgpr_count 2
		.amdhsa_user_sgpr_dispatch_ptr 0
		.amdhsa_user_sgpr_queue_ptr 0
		.amdhsa_user_sgpr_kernarg_segment_ptr 1
		.amdhsa_user_sgpr_dispatch_id 0
		.amdhsa_user_sgpr_kernarg_preload_length 0
		.amdhsa_user_sgpr_kernarg_preload_offset 0
		.amdhsa_user_sgpr_private_segment_size 0
		.amdhsa_uses_dynamic_stack 0
		.amdhsa_enable_private_segment 0
		.amdhsa_system_sgpr_workgroup_id_x 1
		.amdhsa_system_sgpr_workgroup_id_y 0
		.amdhsa_system_sgpr_workgroup_id_z 0
		.amdhsa_system_sgpr_workgroup_info 0
		.amdhsa_system_vgpr_workitem_id 0
		.amdhsa_next_free_vgpr 372
		.amdhsa_next_free_sgpr 54
		.amdhsa_accum_offset 256
		.amdhsa_reserve_vcc 1
		.amdhsa_float_round_mode_32 0
		.amdhsa_float_round_mode_16_64 0
		.amdhsa_float_denorm_mode_32 3
		.amdhsa_float_denorm_mode_16_64 3
		.amdhsa_dx10_clamp 1
		.amdhsa_ieee_mode 1
		.amdhsa_fp16_overflow 0
		.amdhsa_tg_split 0
		.amdhsa_exception_fp_ieee_invalid_op 0
		.amdhsa_exception_fp_denorm_src 0
		.amdhsa_exception_fp_ieee_div_zero 0
		.amdhsa_exception_fp_ieee_overflow 0
		.amdhsa_exception_fp_ieee_underflow 0
		.amdhsa_exception_fp_ieee_inexact 0
		.amdhsa_exception_int_div_zero 0
	.end_amdhsa_kernel
	.text
.Lfunc_end0:
	.size	bluestein_single_back_len1287_dim1_dp_op_CI_CI, .Lfunc_end0-bluestein_single_back_len1287_dim1_dp_op_CI_CI
                                        ; -- End function
	.section	.AMDGPU.csdata,"",@progbits
; Kernel info:
; codeLenInByte = 24296
; NumSgprs: 60
; NumVgprs: 256
; NumAgprs: 116
; TotalNumVgprs: 372
; ScratchSize: 0
; MemoryBound: 0
; FloatMode: 240
; IeeeMode: 1
; LDSByteSize: 20592 bytes/workgroup (compile time only)
; SGPRBlocks: 7
; VGPRBlocks: 46
; NumSGPRsForWavesPerEU: 60
; NumVGPRsForWavesPerEU: 372
; AccumOffset: 256
; Occupancy: 1
; WaveLimiterHint : 1
; COMPUTE_PGM_RSRC2:SCRATCH_EN: 0
; COMPUTE_PGM_RSRC2:USER_SGPR: 2
; COMPUTE_PGM_RSRC2:TRAP_HANDLER: 0
; COMPUTE_PGM_RSRC2:TGID_X_EN: 1
; COMPUTE_PGM_RSRC2:TGID_Y_EN: 0
; COMPUTE_PGM_RSRC2:TGID_Z_EN: 0
; COMPUTE_PGM_RSRC2:TIDIG_COMP_CNT: 0
; COMPUTE_PGM_RSRC3_GFX90A:ACCUM_OFFSET: 63
; COMPUTE_PGM_RSRC3_GFX90A:TG_SPLIT: 0
	.text
	.p2alignl 6, 3212836864
	.fill 256, 4, 3212836864
	.type	__hip_cuid_e44a498aaec3303c,@object ; @__hip_cuid_e44a498aaec3303c
	.section	.bss,"aw",@nobits
	.globl	__hip_cuid_e44a498aaec3303c
__hip_cuid_e44a498aaec3303c:
	.byte	0                               ; 0x0
	.size	__hip_cuid_e44a498aaec3303c, 1

	.ident	"AMD clang version 19.0.0git (https://github.com/RadeonOpenCompute/llvm-project roc-6.4.0 25133 c7fe45cf4b819c5991fe208aaa96edf142730f1d)"
	.section	".note.GNU-stack","",@progbits
	.addrsig
	.addrsig_sym __hip_cuid_e44a498aaec3303c
	.amdgpu_metadata
---
amdhsa.kernels:
  - .agpr_count:     116
    .args:
      - .actual_access:  read_only
        .address_space:  global
        .offset:         0
        .size:           8
        .value_kind:     global_buffer
      - .actual_access:  read_only
        .address_space:  global
        .offset:         8
        .size:           8
        .value_kind:     global_buffer
      - .actual_access:  read_only
        .address_space:  global
        .offset:         16
        .size:           8
        .value_kind:     global_buffer
      - .actual_access:  read_only
        .address_space:  global
        .offset:         24
        .size:           8
        .value_kind:     global_buffer
      - .actual_access:  read_only
        .address_space:  global
        .offset:         32
        .size:           8
        .value_kind:     global_buffer
      - .offset:         40
        .size:           8
        .value_kind:     by_value
      - .address_space:  global
        .offset:         48
        .size:           8
        .value_kind:     global_buffer
      - .address_space:  global
        .offset:         56
        .size:           8
        .value_kind:     global_buffer
      - .address_space:  global
        .offset:         64
        .size:           8
        .value_kind:     global_buffer
      - .address_space:  global
        .offset:         72
        .size:           8
        .value_kind:     global_buffer
      - .offset:         80
        .size:           4
        .value_kind:     by_value
      - .address_space:  global
        .offset:         88
        .size:           8
        .value_kind:     global_buffer
      - .address_space:  global
        .offset:         96
        .size:           8
        .value_kind:     global_buffer
    .group_segment_fixed_size: 20592
    .kernarg_segment_align: 8
    .kernarg_segment_size: 104
    .language:       OpenCL C
    .language_version:
      - 2
      - 0
    .max_flat_workgroup_size: 117
    .name:           bluestein_single_back_len1287_dim1_dp_op_CI_CI
    .private_segment_fixed_size: 0
    .sgpr_count:     60
    .sgpr_spill_count: 0
    .symbol:         bluestein_single_back_len1287_dim1_dp_op_CI_CI.kd
    .uniform_work_group_size: 1
    .uses_dynamic_stack: false
    .vgpr_count:     372
    .vgpr_spill_count: 0
    .wavefront_size: 64
amdhsa.target:   amdgcn-amd-amdhsa--gfx950
amdhsa.version:
  - 1
  - 2
...

	.end_amdgpu_metadata
